;; amdgpu-corpus repo=ROCm/rocFFT kind=compiled arch=gfx1201 opt=O3
	.text
	.amdgcn_target "amdgcn-amd-amdhsa--gfx1201"
	.amdhsa_code_object_version 6
	.protected	fft_rtc_fwd_len1078_factors_2_11_7_7_wgs_231_tpt_77_halfLds_half_ip_CI_unitstride_sbrr_C2R_dirReg ; -- Begin function fft_rtc_fwd_len1078_factors_2_11_7_7_wgs_231_tpt_77_halfLds_half_ip_CI_unitstride_sbrr_C2R_dirReg
	.globl	fft_rtc_fwd_len1078_factors_2_11_7_7_wgs_231_tpt_77_halfLds_half_ip_CI_unitstride_sbrr_C2R_dirReg
	.p2align	8
	.type	fft_rtc_fwd_len1078_factors_2_11_7_7_wgs_231_tpt_77_halfLds_half_ip_CI_unitstride_sbrr_C2R_dirReg,@function
fft_rtc_fwd_len1078_factors_2_11_7_7_wgs_231_tpt_77_halfLds_half_ip_CI_unitstride_sbrr_C2R_dirReg: ; @fft_rtc_fwd_len1078_factors_2_11_7_7_wgs_231_tpt_77_halfLds_half_ip_CI_unitstride_sbrr_C2R_dirReg
; %bb.0:
	s_load_b128 s[4:7], s[0:1], 0x0
	v_mul_u32_u24_e32 v1, 0x354, v0
	s_clause 0x1
	s_load_b64 s[8:9], s[0:1], 0x50
	s_load_b64 s[10:11], s[0:1], 0x18
	v_mov_b32_e32 v5, 0
	v_lshrrev_b32_e32 v1, 16, v1
	s_delay_alu instid0(VALU_DEP_1) | instskip(SKIP_3) | instid1(VALU_DEP_1)
	v_mad_co_u64_u32 v[1:2], null, ttmp9, 3, v[1:2]
	v_mov_b32_e32 v3, 0
	v_mov_b32_e32 v4, 0
	;; [unrolled: 1-line block ×4, first 2 shown]
	s_wait_kmcnt 0x0
	v_cmp_lt_u64_e64 s2, s[6:7], 2
	v_mov_b32_e32 v9, v1
	s_delay_alu instid0(VALU_DEP_2)
	s_and_b32 vcc_lo, exec_lo, s2
	s_cbranch_vccnz .LBB0_8
; %bb.1:
	s_load_b64 s[2:3], s[0:1], 0x10
	v_dual_mov_b32 v3, 0 :: v_dual_mov_b32 v8, v2
	v_dual_mov_b32 v4, 0 :: v_dual_mov_b32 v7, v1
	s_add_nc_u64 s[12:13], s[10:11], 8
	s_mov_b64 s[14:15], 1
	s_wait_kmcnt 0x0
	s_add_nc_u64 s[16:17], s[2:3], 8
	s_mov_b32 s3, 0
.LBB0_2:                                ; =>This Inner Loop Header: Depth=1
	s_load_b64 s[18:19], s[16:17], 0x0
                                        ; implicit-def: $vgpr9_vgpr10
	s_mov_b32 s2, exec_lo
	s_wait_kmcnt 0x0
	v_or_b32_e32 v6, s19, v8
	s_delay_alu instid0(VALU_DEP_1)
	v_cmpx_ne_u64_e32 0, v[5:6]
	s_wait_alu 0xfffe
	s_xor_b32 s20, exec_lo, s2
	s_cbranch_execz .LBB0_4
; %bb.3:                                ;   in Loop: Header=BB0_2 Depth=1
	s_cvt_f32_u32 s2, s18
	s_cvt_f32_u32 s21, s19
	s_sub_nc_u64 s[24:25], 0, s[18:19]
	s_wait_alu 0xfffe
	s_delay_alu instid0(SALU_CYCLE_1) | instskip(SKIP_1) | instid1(SALU_CYCLE_2)
	s_fmamk_f32 s2, s21, 0x4f800000, s2
	s_wait_alu 0xfffe
	v_s_rcp_f32 s2, s2
	s_delay_alu instid0(TRANS32_DEP_1) | instskip(SKIP_1) | instid1(SALU_CYCLE_2)
	s_mul_f32 s2, s2, 0x5f7ffffc
	s_wait_alu 0xfffe
	s_mul_f32 s21, s2, 0x2f800000
	s_wait_alu 0xfffe
	s_delay_alu instid0(SALU_CYCLE_2) | instskip(SKIP_1) | instid1(SALU_CYCLE_2)
	s_trunc_f32 s21, s21
	s_wait_alu 0xfffe
	s_fmamk_f32 s2, s21, 0xcf800000, s2
	s_cvt_u32_f32 s23, s21
	s_wait_alu 0xfffe
	s_delay_alu instid0(SALU_CYCLE_1) | instskip(SKIP_1) | instid1(SALU_CYCLE_2)
	s_cvt_u32_f32 s22, s2
	s_wait_alu 0xfffe
	s_mul_u64 s[26:27], s[24:25], s[22:23]
	s_wait_alu 0xfffe
	s_mul_hi_u32 s29, s22, s27
	s_mul_i32 s28, s22, s27
	s_mul_hi_u32 s2, s22, s26
	s_mul_i32 s30, s23, s26
	s_wait_alu 0xfffe
	s_add_nc_u64 s[28:29], s[2:3], s[28:29]
	s_mul_hi_u32 s21, s23, s26
	s_mul_hi_u32 s31, s23, s27
	s_add_co_u32 s2, s28, s30
	s_wait_alu 0xfffe
	s_add_co_ci_u32 s2, s29, s21
	s_mul_i32 s26, s23, s27
	s_add_co_ci_u32 s27, s31, 0
	s_wait_alu 0xfffe
	s_add_nc_u64 s[26:27], s[2:3], s[26:27]
	s_wait_alu 0xfffe
	v_add_co_u32 v2, s2, s22, s26
	s_delay_alu instid0(VALU_DEP_1) | instskip(SKIP_1) | instid1(VALU_DEP_1)
	s_cmp_lg_u32 s2, 0
	s_add_co_ci_u32 s23, s23, s27
	v_readfirstlane_b32 s22, v2
	s_wait_alu 0xfffe
	s_delay_alu instid0(VALU_DEP_1)
	s_mul_u64 s[24:25], s[24:25], s[22:23]
	s_wait_alu 0xfffe
	s_mul_hi_u32 s27, s22, s25
	s_mul_i32 s26, s22, s25
	s_mul_hi_u32 s2, s22, s24
	s_mul_i32 s28, s23, s24
	s_wait_alu 0xfffe
	s_add_nc_u64 s[26:27], s[2:3], s[26:27]
	s_mul_hi_u32 s21, s23, s24
	s_mul_hi_u32 s22, s23, s25
	s_wait_alu 0xfffe
	s_add_co_u32 s2, s26, s28
	s_add_co_ci_u32 s2, s27, s21
	s_mul_i32 s24, s23, s25
	s_add_co_ci_u32 s25, s22, 0
	s_wait_alu 0xfffe
	s_add_nc_u64 s[24:25], s[2:3], s[24:25]
	s_wait_alu 0xfffe
	v_add_co_u32 v2, s2, v2, s24
	s_delay_alu instid0(VALU_DEP_1) | instskip(SKIP_1) | instid1(VALU_DEP_1)
	s_cmp_lg_u32 s2, 0
	s_add_co_ci_u32 s2, s23, s25
	v_mul_hi_u32 v6, v7, v2
	s_wait_alu 0xfffe
	v_mad_co_u64_u32 v[9:10], null, v7, s2, 0
	v_mad_co_u64_u32 v[11:12], null, v8, v2, 0
	;; [unrolled: 1-line block ×3, first 2 shown]
	s_delay_alu instid0(VALU_DEP_3) | instskip(SKIP_1) | instid1(VALU_DEP_4)
	v_add_co_u32 v2, vcc_lo, v6, v9
	s_wait_alu 0xfffd
	v_add_co_ci_u32_e32 v6, vcc_lo, 0, v10, vcc_lo
	s_delay_alu instid0(VALU_DEP_2) | instskip(SKIP_1) | instid1(VALU_DEP_2)
	v_add_co_u32 v2, vcc_lo, v2, v11
	s_wait_alu 0xfffd
	v_add_co_ci_u32_e32 v2, vcc_lo, v6, v12, vcc_lo
	s_wait_alu 0xfffd
	v_add_co_ci_u32_e32 v6, vcc_lo, 0, v14, vcc_lo
	s_delay_alu instid0(VALU_DEP_2) | instskip(SKIP_1) | instid1(VALU_DEP_2)
	v_add_co_u32 v2, vcc_lo, v2, v13
	s_wait_alu 0xfffd
	v_add_co_ci_u32_e32 v6, vcc_lo, 0, v6, vcc_lo
	s_delay_alu instid0(VALU_DEP_2) | instskip(SKIP_1) | instid1(VALU_DEP_3)
	v_mul_lo_u32 v11, s19, v2
	v_mad_co_u64_u32 v[9:10], null, s18, v2, 0
	v_mul_lo_u32 v12, s18, v6
	s_delay_alu instid0(VALU_DEP_2) | instskip(NEXT) | instid1(VALU_DEP_2)
	v_sub_co_u32 v9, vcc_lo, v7, v9
	v_add3_u32 v10, v10, v12, v11
	s_delay_alu instid0(VALU_DEP_1) | instskip(SKIP_1) | instid1(VALU_DEP_1)
	v_sub_nc_u32_e32 v11, v8, v10
	s_wait_alu 0xfffd
	v_subrev_co_ci_u32_e64 v11, s2, s19, v11, vcc_lo
	v_add_co_u32 v12, s2, v2, 2
	s_wait_alu 0xf1ff
	v_add_co_ci_u32_e64 v13, s2, 0, v6, s2
	v_sub_co_u32 v14, s2, v9, s18
	v_sub_co_ci_u32_e32 v10, vcc_lo, v8, v10, vcc_lo
	s_wait_alu 0xf1ff
	v_subrev_co_ci_u32_e64 v11, s2, 0, v11, s2
	s_delay_alu instid0(VALU_DEP_3) | instskip(NEXT) | instid1(VALU_DEP_3)
	v_cmp_le_u32_e32 vcc_lo, s18, v14
	v_cmp_eq_u32_e64 s2, s19, v10
	s_wait_alu 0xfffd
	v_cndmask_b32_e64 v14, 0, -1, vcc_lo
	v_cmp_le_u32_e32 vcc_lo, s19, v11
	s_wait_alu 0xfffd
	v_cndmask_b32_e64 v15, 0, -1, vcc_lo
	v_cmp_le_u32_e32 vcc_lo, s18, v9
	;; [unrolled: 3-line block ×3, first 2 shown]
	s_wait_alu 0xfffd
	v_cndmask_b32_e64 v16, 0, -1, vcc_lo
	v_cmp_eq_u32_e32 vcc_lo, s19, v11
	s_wait_alu 0xf1ff
	s_delay_alu instid0(VALU_DEP_2)
	v_cndmask_b32_e64 v9, v16, v9, s2
	s_wait_alu 0xfffd
	v_cndmask_b32_e32 v11, v15, v14, vcc_lo
	v_add_co_u32 v14, vcc_lo, v2, 1
	s_wait_alu 0xfffd
	v_add_co_ci_u32_e32 v15, vcc_lo, 0, v6, vcc_lo
	s_delay_alu instid0(VALU_DEP_3) | instskip(SKIP_1) | instid1(VALU_DEP_2)
	v_cmp_ne_u32_e32 vcc_lo, 0, v11
	s_wait_alu 0xfffd
	v_dual_cndmask_b32 v10, v15, v13 :: v_dual_cndmask_b32 v11, v14, v12
	v_cmp_ne_u32_e32 vcc_lo, 0, v9
	s_wait_alu 0xfffd
	s_delay_alu instid0(VALU_DEP_2) | instskip(NEXT) | instid1(VALU_DEP_3)
	v_cndmask_b32_e32 v10, v6, v10, vcc_lo
	v_cndmask_b32_e32 v9, v2, v11, vcc_lo
.LBB0_4:                                ;   in Loop: Header=BB0_2 Depth=1
	s_wait_alu 0xfffe
	s_and_not1_saveexec_b32 s2, s20
	s_cbranch_execz .LBB0_6
; %bb.5:                                ;   in Loop: Header=BB0_2 Depth=1
	v_cvt_f32_u32_e32 v2, s18
	s_sub_co_i32 s20, 0, s18
	s_delay_alu instid0(VALU_DEP_1) | instskip(NEXT) | instid1(TRANS32_DEP_1)
	v_rcp_iflag_f32_e32 v2, v2
	v_mul_f32_e32 v2, 0x4f7ffffe, v2
	s_delay_alu instid0(VALU_DEP_1) | instskip(SKIP_1) | instid1(VALU_DEP_1)
	v_cvt_u32_f32_e32 v2, v2
	s_wait_alu 0xfffe
	v_mul_lo_u32 v6, s20, v2
	s_delay_alu instid0(VALU_DEP_1) | instskip(NEXT) | instid1(VALU_DEP_1)
	v_mul_hi_u32 v6, v2, v6
	v_add_nc_u32_e32 v2, v2, v6
	s_delay_alu instid0(VALU_DEP_1) | instskip(NEXT) | instid1(VALU_DEP_1)
	v_mul_hi_u32 v2, v7, v2
	v_mul_lo_u32 v6, v2, s18
	v_add_nc_u32_e32 v9, 1, v2
	s_delay_alu instid0(VALU_DEP_2) | instskip(NEXT) | instid1(VALU_DEP_1)
	v_sub_nc_u32_e32 v6, v7, v6
	v_subrev_nc_u32_e32 v10, s18, v6
	v_cmp_le_u32_e32 vcc_lo, s18, v6
	s_wait_alu 0xfffd
	s_delay_alu instid0(VALU_DEP_2) | instskip(SKIP_2) | instid1(VALU_DEP_3)
	v_cndmask_b32_e32 v6, v6, v10, vcc_lo
	v_mov_b32_e32 v10, v5
	v_cndmask_b32_e32 v2, v2, v9, vcc_lo
	v_cmp_le_u32_e32 vcc_lo, s18, v6
	s_delay_alu instid0(VALU_DEP_2) | instskip(SKIP_1) | instid1(VALU_DEP_1)
	v_add_nc_u32_e32 v9, 1, v2
	s_wait_alu 0xfffd
	v_cndmask_b32_e32 v9, v2, v9, vcc_lo
.LBB0_6:                                ;   in Loop: Header=BB0_2 Depth=1
	s_wait_alu 0xfffe
	s_or_b32 exec_lo, exec_lo, s2
	s_load_b64 s[20:21], s[12:13], 0x0
	v_mul_lo_u32 v2, v10, s18
	v_mul_lo_u32 v6, v9, s19
	v_mad_co_u64_u32 v[11:12], null, v9, s18, 0
	s_add_nc_u64 s[14:15], s[14:15], 1
	s_add_nc_u64 s[12:13], s[12:13], 8
	s_wait_alu 0xfffe
	v_cmp_ge_u64_e64 s2, s[14:15], s[6:7]
	s_add_nc_u64 s[16:17], s[16:17], 8
	s_delay_alu instid0(VALU_DEP_2) | instskip(NEXT) | instid1(VALU_DEP_3)
	v_add3_u32 v2, v12, v6, v2
	v_sub_co_u32 v6, vcc_lo, v7, v11
	s_wait_alu 0xfffd
	s_delay_alu instid0(VALU_DEP_2) | instskip(SKIP_3) | instid1(VALU_DEP_2)
	v_sub_co_ci_u32_e32 v2, vcc_lo, v8, v2, vcc_lo
	s_and_b32 vcc_lo, exec_lo, s2
	s_wait_kmcnt 0x0
	v_mul_lo_u32 v7, s21, v6
	v_mul_lo_u32 v2, s20, v2
	v_mad_co_u64_u32 v[3:4], null, s20, v6, v[3:4]
	s_delay_alu instid0(VALU_DEP_1)
	v_add3_u32 v4, v7, v4, v2
	s_wait_alu 0xfffe
	s_cbranch_vccnz .LBB0_8
; %bb.7:                                ;   in Loop: Header=BB0_2 Depth=1
	v_dual_mov_b32 v7, v9 :: v_dual_mov_b32 v8, v10
	s_branch .LBB0_2
.LBB0_8:
	s_lshl_b64 s[2:3], s[6:7], 3
	v_mul_hi_u32 v2, 0xaaaaaaab, v1
	s_wait_alu 0xfffe
	s_add_nc_u64 s[2:3], s[10:11], s[2:3]
	s_load_b64 s[0:1], s[0:1], 0x20
	s_load_b64 s[2:3], s[2:3], 0x0
	v_mul_hi_u32 v5, 0x3531ded, v0
	s_delay_alu instid0(VALU_DEP_2) | instskip(NEXT) | instid1(VALU_DEP_2)
	v_lshrrev_b32_e32 v2, 1, v2
	v_mul_u32_u24_e32 v5, 0x4d, v5
	s_delay_alu instid0(VALU_DEP_2) | instskip(NEXT) | instid1(VALU_DEP_2)
	v_lshl_add_u32 v2, v2, 1, v2
	v_sub_nc_u32_e32 v8, v0, v5
	s_delay_alu instid0(VALU_DEP_2)
	v_sub_nc_u32_e32 v1, v1, v2
	s_wait_kmcnt 0x0
	v_cmp_gt_u64_e32 vcc_lo, s[0:1], v[9:10]
	v_mul_lo_u32 v6, s2, v10
	v_mul_lo_u32 v7, s3, v9
	v_mad_co_u64_u32 v[3:4], null, s2, v9, v[3:4]
	v_mul_u32_u24_e32 v2, 0x437, v1
	s_delay_alu instid0(VALU_DEP_1) | instskip(NEXT) | instid1(VALU_DEP_3)
	v_lshlrev_b32_e32 v36, 2, v2
	v_add3_u32 v4, v7, v4, v6
	s_delay_alu instid0(VALU_DEP_1)
	v_lshlrev_b64_e32 v[10:11], 2, v[3:4]
	s_and_saveexec_b32 s1, vcc_lo
	s_cbranch_execz .LBB0_12
; %bb.9:
	v_mov_b32_e32 v9, 0
	s_delay_alu instid0(VALU_DEP_2) | instskip(SKIP_2) | instid1(VALU_DEP_3)
	v_add_co_u32 v0, s0, s8, v10
	s_wait_alu 0xf1ff
	v_add_co_ci_u32_e64 v1, s0, s9, v11, s0
	v_lshlrev_b64_e32 v[3:4], 2, v[8:9]
	s_mov_b32 s2, exec_lo
	s_delay_alu instid0(VALU_DEP_1) | instskip(SKIP_1) | instid1(VALU_DEP_2)
	v_add_co_u32 v3, s0, v0, v3
	s_wait_alu 0xf1ff
	v_add_co_ci_u32_e64 v4, s0, v1, v4, s0
	s_clause 0xd
	global_load_b32 v5, v[3:4], off
	global_load_b32 v6, v[3:4], off offset:308
	global_load_b32 v7, v[3:4], off offset:616
	global_load_b32 v9, v[3:4], off offset:924
	global_load_b32 v12, v[3:4], off offset:1232
	global_load_b32 v13, v[3:4], off offset:1540
	global_load_b32 v14, v[3:4], off offset:1848
	global_load_b32 v15, v[3:4], off offset:2156
	global_load_b32 v16, v[3:4], off offset:2464
	global_load_b32 v17, v[3:4], off offset:2772
	global_load_b32 v18, v[3:4], off offset:3080
	global_load_b32 v19, v[3:4], off offset:3388
	global_load_b32 v20, v[3:4], off offset:3696
	global_load_b32 v4, v[3:4], off offset:4004
	v_lshlrev_b32_e32 v3, 2, v8
	s_delay_alu instid0(VALU_DEP_1) | instskip(NEXT) | instid1(VALU_DEP_1)
	v_add3_u32 v3, 0, v36, v3
	v_add_nc_u32_e32 v22, 0x600, v3
	v_add_nc_u32_e32 v21, 0x400, v3
	;; [unrolled: 1-line block ×4, first 2 shown]
	s_wait_loadcnt 0xc
	ds_store_2addr_b32 v3, v5, v6 offset1:77
	s_wait_loadcnt 0xa
	ds_store_2addr_b32 v3, v7, v9 offset0:154 offset1:231
	s_wait_loadcnt 0x8
	ds_store_2addr_b32 v21, v12, v13 offset0:52 offset1:129
	;; [unrolled: 2-line block ×6, first 2 shown]
	v_cmpx_eq_u32_e32 0x4c, v8
	s_cbranch_execz .LBB0_11
; %bb.10:
	global_load_b32 v0, v[0:1], off offset:4312
	v_mov_b32_e32 v8, 0x4c
	s_wait_loadcnt 0x0
	ds_store_b32 v3, v0 offset:4008
.LBB0_11:
	s_wait_alu 0xfffe
	s_or_b32 exec_lo, exec_lo, s2
.LBB0_12:
	s_wait_alu 0xfffe
	s_or_b32 exec_lo, exec_lo, s1
	v_lshl_add_u32 v34, v2, 2, 0
	v_lshlrev_b32_e32 v0, 2, v8
	global_wb scope:SCOPE_SE
	s_wait_dscnt 0x0
	s_barrier_signal -1
	s_barrier_wait -1
	global_inv scope:SCOPE_SE
	v_add_nc_u32_e32 v35, v34, v0
	v_sub_nc_u32_e32 v2, v34, v0
	s_mov_b32 s1, exec_lo
	ds_load_u16 v0, v35
	ds_load_u16 v1, v2 offset:4312
	s_wait_dscnt 0x0
	v_add_f16_e32 v4, v1, v0
	v_sub_f16_e32 v3, v0, v1
                                        ; implicit-def: $vgpr0_vgpr1
	v_cmpx_ne_u32_e32 0, v8
	s_wait_alu 0xfffe
	s_xor_b32 s1, exec_lo, s1
	s_cbranch_execz .LBB0_14
; %bb.13:
	v_mov_b32_e32 v9, 0
	s_delay_alu instid0(VALU_DEP_1) | instskip(NEXT) | instid1(VALU_DEP_1)
	v_lshlrev_b64_e32 v[0:1], 2, v[8:9]
	v_add_co_u32 v0, s0, s4, v0
	s_wait_alu 0xf1ff
	s_delay_alu instid0(VALU_DEP_2)
	v_add_co_ci_u32_e64 v1, s0, s5, v1, s0
	global_load_b32 v0, v[0:1], off offset:4304
	ds_load_u16 v1, v2 offset:4314
	ds_load_u16 v5, v35 offset:2
	s_wait_dscnt 0x0
	v_add_f16_e32 v6, v1, v5
	v_sub_f16_e32 v1, v5, v1
	s_wait_loadcnt 0x0
	v_lshrrev_b32_e32 v7, 16, v0
	s_delay_alu instid0(VALU_DEP_1) | instskip(NEXT) | instid1(VALU_DEP_3)
	v_fma_f16 v5, v3, v7, v4
	v_fma_f16 v12, v6, v7, v1
	v_fma_f16 v4, -v3, v7, v4
	v_fma_f16 v1, v6, v7, -v1
	s_delay_alu instid0(VALU_DEP_4) | instskip(NEXT) | instid1(VALU_DEP_4)
	v_fma_f16 v5, -v0, v6, v5
	v_fmac_f16_e32 v12, v3, v0
	s_delay_alu instid0(VALU_DEP_4) | instskip(NEXT) | instid1(VALU_DEP_4)
	v_fmac_f16_e32 v4, v0, v6
	v_fmac_f16_e32 v1, v3, v0
	s_delay_alu instid0(VALU_DEP_3) | instskip(NEXT) | instid1(VALU_DEP_2)
	v_pack_b32_f16 v3, v5, v12
	v_pack_b32_f16 v4, v4, v1
	v_dual_mov_b32 v0, v8 :: v_dual_mov_b32 v1, v9
	ds_store_b32 v35, v3
	ds_store_b32 v2, v4 offset:4312
                                        ; implicit-def: $vgpr4
                                        ; implicit-def: $vgpr3
.LBB0_14:
	s_wait_alu 0xfffe
	s_and_not1_saveexec_b32 s0, s1
	s_cbranch_execz .LBB0_16
; %bb.15:
	v_pack_b32_f16 v0, v4, v3
	ds_store_b32 v35, v0
	ds_load_b32 v0, v34 offset:2156
	s_wait_dscnt 0x0
	v_pk_mul_f16 v3, 0xc0004000, v0
	v_mov_b32_e32 v0, 0
	v_mov_b32_e32 v1, 0
	ds_store_b32 v34, v3 offset:2156
.LBB0_16:
	s_wait_alu 0xfffe
	s_or_b32 exec_lo, exec_lo, s0
	v_lshlrev_b64_e32 v[0:1], 2, v[0:1]
	s_add_nc_u64 s[0:1], s[4:5], 0x10d0
	v_add_nc_u32_e32 v37, 0x4d, v8
                                        ; implicit-def: $vgpr41
                                        ; implicit-def: $vgpr40
                                        ; implicit-def: $vgpr38
                                        ; implicit-def: $vgpr47
                                        ; implicit-def: $vgpr44
                                        ; implicit-def: $vgpr46
                                        ; implicit-def: $vgpr45
                                        ; implicit-def: $vgpr43
                                        ; implicit-def: $vgpr42
	s_wait_alu 0xfffe
	s_delay_alu instid0(VALU_DEP_2)
	v_add_co_u32 v0, s0, s0, v0
	s_wait_alu 0xf1ff
	v_add_co_ci_u32_e64 v1, s0, s1, v1, s0
	v_cmp_gt_u32_e64 s0, 21, v8
	s_clause 0x5
	global_load_b32 v3, v[0:1], off offset:308
	global_load_b32 v4, v[0:1], off offset:616
	;; [unrolled: 1-line block ×6, first 2 shown]
	ds_load_b32 v1, v35 offset:308
	ds_load_b32 v9, v2 offset:4004
	s_wait_dscnt 0x1
	v_lshrrev_b32_e32 v12, 16, v1
	s_wait_dscnt 0x0
	v_lshrrev_b32_e32 v13, 16, v9
	v_add_f16_e32 v14, v1, v9
	v_sub_f16_e32 v1, v1, v9
	s_delay_alu instid0(VALU_DEP_3) | instskip(SKIP_3) | instid1(VALU_DEP_1)
	v_add_f16_e32 v9, v13, v12
	v_sub_f16_e32 v12, v12, v13
	s_wait_loadcnt 0x5
	v_lshrrev_b32_e32 v15, 16, v3
	v_fma_f16 v13, v1, v15, v14
	s_delay_alu instid0(VALU_DEP_3) | instskip(SKIP_2) | instid1(VALU_DEP_4)
	v_fma_f16 v16, v9, v15, v12
	v_fma_f16 v14, -v1, v15, v14
	v_fma_f16 v12, v9, v15, -v12
	v_fma_f16 v13, -v3, v9, v13
	s_delay_alu instid0(VALU_DEP_4) | instskip(NEXT) | instid1(VALU_DEP_4)
	v_fmac_f16_e32 v16, v1, v3
	v_fmac_f16_e32 v14, v3, v9
	s_delay_alu instid0(VALU_DEP_4) | instskip(NEXT) | instid1(VALU_DEP_3)
	v_fmac_f16_e32 v12, v1, v3
	v_pack_b32_f16 v1, v13, v16
	s_wait_loadcnt 0x4
	v_lshrrev_b32_e32 v13, 16, v4
	s_delay_alu instid0(VALU_DEP_3)
	v_pack_b32_f16 v3, v14, v12
	ds_store_b32 v35, v1 offset:308
	ds_store_b32 v2, v3 offset:4004
	ds_load_b32 v1, v35 offset:616
	ds_load_b32 v3, v2 offset:3696
	s_wait_dscnt 0x1
	v_lshrrev_b32_e32 v9, 16, v1
	s_wait_dscnt 0x0
	v_lshrrev_b32_e32 v12, 16, v3
	v_add_f16_e32 v14, v1, v3
	v_sub_f16_e32 v1, v1, v3
	s_delay_alu instid0(VALU_DEP_3) | instskip(SKIP_1) | instid1(VALU_DEP_3)
	v_add_f16_e32 v3, v12, v9
	v_sub_f16_e32 v9, v9, v12
	v_fma_f16 v12, v1, v13, v14
	v_fma_f16 v14, -v1, v13, v14
	s_delay_alu instid0(VALU_DEP_3) | instskip(SKIP_1) | instid1(VALU_DEP_4)
	v_fma_f16 v15, v3, v13, v9
	v_fma_f16 v9, v3, v13, -v9
	v_fma_f16 v12, -v4, v3, v12
	s_delay_alu instid0(VALU_DEP_4) | instskip(NEXT) | instid1(VALU_DEP_4)
	v_fmac_f16_e32 v14, v4, v3
	v_fmac_f16_e32 v15, v1, v4
	s_delay_alu instid0(VALU_DEP_4) | instskip(NEXT) | instid1(VALU_DEP_2)
	v_fmac_f16_e32 v9, v1, v4
	v_pack_b32_f16 v1, v12, v15
	s_delay_alu instid0(VALU_DEP_2)
	v_pack_b32_f16 v3, v14, v9
	ds_store_b32 v35, v1 offset:616
	ds_store_b32 v2, v3 offset:3696
	ds_load_b32 v1, v35 offset:924
	ds_load_b32 v3, v2 offset:3388
	s_wait_loadcnt 0x3
	v_lshrrev_b32_e32 v12, 16, v5
	s_wait_dscnt 0x1
	v_lshrrev_b32_e32 v4, 16, v1
	s_wait_dscnt 0x0
	v_lshrrev_b32_e32 v9, 16, v3
	v_add_f16_e32 v13, v1, v3
	v_sub_f16_e32 v1, v1, v3
	s_delay_alu instid0(VALU_DEP_3) | instskip(SKIP_1) | instid1(VALU_DEP_3)
	v_add_f16_e32 v3, v9, v4
	v_sub_f16_e32 v4, v4, v9
	v_fma_f16 v9, v1, v12, v13
	v_fma_f16 v13, -v1, v12, v13
	s_delay_alu instid0(VALU_DEP_3) | instskip(SKIP_1) | instid1(VALU_DEP_4)
	v_fma_f16 v14, v3, v12, v4
	v_fma_f16 v4, v3, v12, -v4
	v_fma_f16 v9, -v5, v3, v9
	s_delay_alu instid0(VALU_DEP_4) | instskip(NEXT) | instid1(VALU_DEP_4)
	v_fmac_f16_e32 v13, v5, v3
	v_fmac_f16_e32 v14, v1, v5
	s_delay_alu instid0(VALU_DEP_4) | instskip(NEXT) | instid1(VALU_DEP_2)
	v_fmac_f16_e32 v4, v1, v5
	v_pack_b32_f16 v1, v9, v14
	s_delay_alu instid0(VALU_DEP_2)
	v_pack_b32_f16 v3, v13, v4
	ds_store_b32 v35, v1 offset:924
	ds_store_b32 v2, v3 offset:3388
	ds_load_b32 v1, v35 offset:1232
	ds_load_b32 v3, v2 offset:3080
	s_wait_loadcnt 0x2
	v_lshrrev_b32_e32 v9, 16, v6
	s_wait_dscnt 0x1
	v_lshrrev_b32_e32 v4, 16, v1
	s_wait_dscnt 0x0
	v_lshrrev_b32_e32 v5, 16, v3
	v_add_f16_e32 v12, v1, v3
	v_sub_f16_e32 v1, v1, v3
	s_delay_alu instid0(VALU_DEP_3) | instskip(SKIP_1) | instid1(VALU_DEP_3)
	v_add_f16_e32 v3, v5, v4
	v_sub_f16_e32 v4, v4, v5
	v_fma_f16 v5, v1, v9, v12
	v_fma_f16 v12, -v1, v9, v12
	s_delay_alu instid0(VALU_DEP_3) | instskip(SKIP_1) | instid1(VALU_DEP_4)
	v_fma_f16 v13, v3, v9, v4
	v_fma_f16 v4, v3, v9, -v4
	v_fma_f16 v5, -v6, v3, v5
	s_delay_alu instid0(VALU_DEP_4) | instskip(NEXT) | instid1(VALU_DEP_4)
	v_fmac_f16_e32 v12, v6, v3
	v_fmac_f16_e32 v13, v1, v6
	s_delay_alu instid0(VALU_DEP_4) | instskip(SKIP_2) | instid1(VALU_DEP_3)
	v_fmac_f16_e32 v4, v1, v6
	s_wait_loadcnt 0x1
	v_lshrrev_b32_e32 v6, 16, v7
	v_pack_b32_f16 v1, v5, v13
	s_delay_alu instid0(VALU_DEP_3)
	v_pack_b32_f16 v3, v12, v4
	ds_store_b32 v35, v1 offset:1232
	ds_store_b32 v2, v3 offset:3080
	ds_load_b32 v1, v35 offset:1540
	ds_load_b32 v3, v2 offset:2772
	s_wait_dscnt 0x1
	v_lshrrev_b32_e32 v4, 16, v1
	s_wait_dscnt 0x0
	v_lshrrev_b32_e32 v5, 16, v3
	v_add_f16_e32 v9, v1, v3
	v_sub_f16_e32 v1, v1, v3
	s_delay_alu instid0(VALU_DEP_3) | instskip(SKIP_1) | instid1(VALU_DEP_3)
	v_add_f16_e32 v3, v5, v4
	v_sub_f16_e32 v4, v4, v5
	v_fma_f16 v5, v1, v6, v9
	v_fma_f16 v9, -v1, v6, v9
	s_delay_alu instid0(VALU_DEP_3) | instskip(SKIP_1) | instid1(VALU_DEP_4)
	v_fma_f16 v12, v3, v6, v4
	v_fma_f16 v4, v3, v6, -v4
	v_fma_f16 v5, -v7, v3, v5
	s_delay_alu instid0(VALU_DEP_4) | instskip(SKIP_4) | instid1(VALU_DEP_2)
	v_fmac_f16_e32 v9, v7, v3
	s_wait_loadcnt 0x0
	v_lshrrev_b32_e32 v6, 16, v0
	v_fmac_f16_e32 v12, v1, v7
	v_fmac_f16_e32 v4, v1, v7
	v_pack_b32_f16 v1, v5, v12
	s_delay_alu instid0(VALU_DEP_2)
	v_pack_b32_f16 v3, v9, v4
	ds_store_b32 v35, v1 offset:1540
	ds_store_b32 v2, v3 offset:2772
	ds_load_b32 v1, v35 offset:1848
	ds_load_b32 v3, v2 offset:2464
	s_wait_dscnt 0x1
	v_lshrrev_b32_e32 v4, 16, v1
	s_wait_dscnt 0x0
	v_lshrrev_b32_e32 v5, 16, v3
	v_add_f16_e32 v7, v1, v3
	v_sub_f16_e32 v1, v1, v3
	s_delay_alu instid0(VALU_DEP_3) | instskip(SKIP_2) | instid1(VALU_DEP_4)
	v_add_f16_e32 v3, v5, v4
	v_sub_f16_e32 v4, v4, v5
	v_lshl_add_u32 v5, v8, 2, 0
	v_fma_f16 v12, v1, v6, v7
	v_fma_f16 v7, -v1, v6, v7
	s_delay_alu instid0(VALU_DEP_4)
	v_fma_f16 v13, v3, v6, v4
	v_fma_f16 v4, v3, v6, -v4
	v_add_nc_u32_e32 v9, v5, v36
	v_fma_f16 v5, -v0, v3, v12
	v_fmac_f16_e32 v7, v0, v3
	v_fmac_f16_e32 v13, v1, v0
	;; [unrolled: 1-line block ×3, first 2 shown]
	v_add_nc_u32_e32 v1, 0x800, v9
	v_add_nc_u32_e32 v3, 0x400, v9
	;; [unrolled: 1-line block ×3, first 2 shown]
	v_pack_b32_f16 v5, v5, v13
	v_pack_b32_f16 v4, v7, v4
	ds_store_b32 v35, v5 offset:1848
	ds_store_b32 v2, v4 offset:2464
	global_wb scope:SCOPE_SE
	s_wait_dscnt 0x0
	s_barrier_signal -1
	s_barrier_wait -1
	global_inv scope:SCOPE_SE
	global_wb scope:SCOPE_SE
	s_barrier_signal -1
	s_barrier_wait -1
	global_inv scope:SCOPE_SE
	ds_load_2addr_b32 v[4:5], v1 offset0:27 offset1:104
	ds_load_b32 v22, v35
	ds_load_2addr_b32 v[6:7], v3 offset0:129 offset1:206
	ds_load_2addr_b32 v[13:14], v0 offset0:79 offset1:156
	ds_load_b32 v23, v9 offset:4004
	v_add_nc_u32_e32 v21, 0xa00, v9
	v_add_nc_u32_e32 v19, 0x200, v9
	ds_load_2addr_b32 v[15:16], v9 offset0:77 offset1:154
	ds_load_2addr_b32 v[17:18], v21 offset0:53 offset1:130
	;; [unrolled: 1-line block ×3, first 2 shown]
	v_lshlrev_b32_e32 v12, 3, v8
	v_lshlrev_b32_e32 v2, 3, v37
	global_wb scope:SCOPE_SE
	s_wait_dscnt 0x0
	s_barrier_signal -1
	s_barrier_wait -1
	v_add3_u32 v24, 0, v12, v36
	v_add3_u32 v25, 0, v2, v36
	v_add_nc_u32_e32 v2, 0x600, v9
	global_inv scope:SCOPE_SE
	v_add_nc_u32_e32 v26, 0x4d0, v24
	v_pk_add_f16 v4, v22, v4 neg_lo:[0,1] neg_hi:[0,1]
	v_add_nc_u32_e32 v27, 0x738, v24
	v_pk_add_f16 v12, v6, v14 neg_lo:[0,1] neg_hi:[0,1]
	v_pk_add_f16 v14, v7, v23 neg_lo:[0,1] neg_hi:[0,1]
	v_lshrrev_b32_e32 v23, 16, v22
	v_lshrrev_b32_e32 v31, 16, v4
	v_pk_add_f16 v5, v15, v5 neg_lo:[0,1] neg_hi:[0,1]
	v_fma_f16 v22, v22, 2.0, -v4
	v_pk_add_f16 v17, v16, v17 neg_lo:[0,1] neg_hi:[0,1]
	v_pk_add_f16 v18, v19, v18 neg_lo:[0,1] neg_hi:[0,1]
	v_fma_f16 v23, v23, 2.0, -v31
	v_pk_add_f16 v31, v20, v13 neg_lo:[0,1] neg_hi:[0,1]
	v_pk_fma_f16 v13, v7, 2.0, v14 op_sel_hi:[1,0,1] neg_lo:[0,0,1] neg_hi:[0,0,1]
	v_pk_fma_f16 v7, v15, 2.0, v5 op_sel_hi:[1,0,1] neg_lo:[0,0,1] neg_hi:[0,0,1]
	v_and_b32_e32 v15, 0xffff, v22
	v_lshlrev_b32_e32 v22, 16, v23
	v_pk_fma_f16 v16, v16, 2.0, v17 op_sel_hi:[1,0,1] neg_lo:[0,0,1] neg_hi:[0,0,1]
	v_pk_fma_f16 v19, v19, 2.0, v18 op_sel_hi:[1,0,1] neg_lo:[0,0,1] neg_hi:[0,0,1]
	v_add_nc_u32_e32 v28, 0x9a0, v24
	v_pk_fma_f16 v20, v20, 2.0, v31 op_sel_hi:[1,0,1] neg_lo:[0,0,1] neg_hi:[0,0,1]
	v_add_nc_u32_e32 v29, 0xc08, v24
	v_add_nc_u32_e32 v30, 0xe70, v24
	v_pk_fma_f16 v6, v6, 2.0, v12 op_sel_hi:[1,0,1] neg_lo:[0,0,1] neg_hi:[0,0,1]
	v_or_b32_e32 v15, v22, v15
	ds_store_2addr_b32 v25, v7, v5 offset1:1
	ds_store_2addr_b32 v26, v16, v17 offset1:1
	;; [unrolled: 1-line block ×7, first 2 shown]
	global_wb scope:SCOPE_SE
	s_wait_dscnt 0x0
	s_barrier_signal -1
	s_barrier_wait -1
	global_inv scope:SCOPE_SE
	ds_load_b32 v48, v35
	ds_load_2addr_b32 v[30:31], v9 offset0:98 offset1:196
	ds_load_2addr_b32 v[28:29], v3 offset0:38 offset1:136
	;; [unrolled: 1-line block ×5, first 2 shown]
	v_lshrrev_b32_e32 v39, 16, v14
                                        ; implicit-def: $vgpr16
                                        ; implicit-def: $vgpr21
                                        ; implicit-def: $vgpr19
	s_and_saveexec_b32 s1, s0
	s_cbranch_execz .LBB0_18
; %bb.17:
	ds_load_2addr_b32 v[14:15], v3 offset0:17 offset1:115
	ds_load_2addr_b32 v[16:17], v2 offset0:85 offset1:183
	;; [unrolled: 1-line block ×4, first 2 shown]
	ds_load_b32 v44, v9 offset:4228
	ds_load_2addr_b32 v[12:13], v9 offset0:77 offset1:175
	s_wait_dscnt 0x5
	v_lshrrev_b32_e32 v39, 16, v14
	v_lshrrev_b32_e32 v41, 16, v15
	s_wait_dscnt 0x4
	v_lshrrev_b32_e32 v40, 16, v16
	v_lshrrev_b32_e32 v38, 16, v17
	;; [unrolled: 3-line block ×4, first 2 shown]
	s_wait_dscnt 0x1
	v_lshrrev_b32_e32 v47, 16, v44
.LBB0_18:
	s_wait_alu 0xfffe
	s_or_b32 exec_lo, exec_lo, s1
	v_and_b32_e32 v49, 1, v8
	v_lshrrev_b32_e32 v50, 1, v8
	s_wait_dscnt 0x4
	v_lshrrev_b32_e32 v53, 16, v30
	s_wait_dscnt 0x0
	v_lshrrev_b32_e32 v51, 16, v22
	v_lshrrev_b32_e32 v52, 16, v23
	v_mul_u32_u24_e32 v0, 10, v49
	v_mul_u32_u24_e32 v50, 22, v50
	v_lshrrev_b32_e32 v54, 16, v31
	v_lshrrev_b32_e32 v55, 16, v28
	;; [unrolled: 1-line block ×3, first 2 shown]
	v_lshlrev_b32_e32 v32, 2, v0
	v_lshrrev_b32_e32 v57, 16, v26
	v_lshrrev_b32_e32 v58, 16, v27
	;; [unrolled: 1-line block ×4, first 2 shown]
	s_clause 0x2
	global_load_b128 v[0:3], v32, s[4:5]
	global_load_b128 v[4:7], v32, s[4:5] offset:16
	global_load_b64 v[32:33], v32, s[4:5] offset:32
	v_or_b32_e32 v50, v50, v49
	v_lshrrev_b32_e32 v49, 16, v48
	global_wb scope:SCOPE_SE
	s_wait_loadcnt 0x0
	s_barrier_signal -1
	s_barrier_wait -1
	v_lshlrev_b32_e32 v50, 2, v50
	global_inv scope:SCOPE_SE
	v_add3_u32 v50, 0, v50, v36
	v_lshrrev_b32_e32 v61, 16, v0
	v_lshrrev_b32_e32 v62, 16, v1
	;; [unrolled: 1-line block ×10, first 2 shown]
	v_mul_f16_e32 v71, v61, v53
	v_mul_f16_e32 v61, v61, v30
	;; [unrolled: 1-line block ×18, first 2 shown]
	v_fma_f16 v30, v0, v30, -v71
	v_fmac_f16_e32 v61, v0, v53
	v_mul_f16_e32 v69, v22, v69
	v_mul_f16_e32 v70, v23, v70
	v_fma_f16 v0, v1, v31, -v72
	v_fmac_f16_e32 v62, v1, v54
	v_fma_f16 v1, v2, v28, -v73
	v_fmac_f16_e32 v63, v2, v55
	;; [unrolled: 2-line block ×7, first 2 shown]
	v_fma_f16 v7, v22, v32, -v79
	v_fma_f16 v22, v23, v33, -v80
	v_add_f16_e32 v23, v30, v48
	v_add_f16_e32 v24, v61, v49
	v_fmac_f16_e32 v70, v52, v33
	v_add_f16_e32 v29, v0, v7
	v_sub_f16_e32 v31, v0, v7
	v_add_f16_e32 v0, v23, v0
	v_add_f16_e32 v23, v24, v62
	;; [unrolled: 1-line block ×3, first 2 shown]
	v_sub_f16_e32 v52, v1, v6
	v_fmac_f16_e32 v69, v51, v32
	v_add_f16_e32 v0, v0, v1
	v_add_f16_e32 v1, v23, v63
	v_sub_f16_e32 v27, v30, v22
	v_sub_f16_e32 v28, v61, v70
	v_add_f16_e32 v25, v30, v22
	v_add_f16_e32 v0, v0, v2
	;; [unrolled: 1-line block ×5, first 2 shown]
	v_sub_f16_e32 v32, v62, v69
	v_sub_f16_e32 v53, v63, v68
	v_sub_f16_e32 v55, v64, v67
	v_sub_f16_e32 v56, v2, v5
	v_sub_f16_e32 v58, v65, v66
	v_sub_f16_e32 v60, v3, v4
	v_mul_f16_e32 v24, 0xb853, v28
	v_mul_f16_e32 v62, 0xb853, v27
	;; [unrolled: 1-line block ×10, first 2 shown]
	v_add_f16_e32 v0, v0, v3
	v_add_f16_e32 v1, v1, v65
	;; [unrolled: 1-line block ×7, first 2 shown]
	v_mul_f16_e32 v77, 0xbb47, v32
	v_mul_f16_e32 v78, 0xbb47, v31
	;; [unrolled: 1-line block ×40, first 2 shown]
	v_fma_f16 v23, v25, 0x3abb, -v24
	v_fmamk_f16 v63, v26, 0x3abb, v62
	v_fmac_f16_e32 v24, 0x3abb, v25
	v_fma_f16 v62, v26, 0x3abb, -v62
	v_fma_f16 v109, v25, 0x36a6, -v71
	v_fmamk_f16 v110, v26, 0x36a6, v72
	v_fmac_f16_e32 v71, 0x36a6, v25
	v_fma_f16 v72, v26, 0x36a6, -v72
	;; [unrolled: 4-line block ×3, first 2 shown]
	v_fmac_f16_e32 v75, 0xb93d, v25
	v_fma_f16 v115, v25, 0xbbad, -v28
	v_fmac_f16_e32 v28, 0xbbad, v25
	v_fma_f16 v74, v26, 0xb08e, -v74
	v_fmamk_f16 v114, v26, 0xb93d, v76
	v_fma_f16 v76, v26, 0xb93d, -v76
	v_fmamk_f16 v116, v26, 0xbbad, v27
	v_fma_f16 v25, v26, 0xbbad, -v27
	v_add_f16_e32 v0, v0, v4
	v_add_f16_e32 v1, v1, v66
	v_fma_f16 v26, v29, 0x36a6, -v77
	v_fmamk_f16 v27, v30, 0x36a6, v78
	v_fmac_f16_e32 v77, 0x36a6, v29
	v_fma_f16 v78, v30, 0x36a6, -v78
	v_fma_f16 v117, v29, 0xb93d, -v79
	v_fmamk_f16 v118, v30, 0xb93d, v80
	v_fmac_f16_e32 v79, 0xb93d, v29
	v_fma_f16 v80, v30, 0xb93d, -v80
	;; [unrolled: 4-line block ×7, first 2 shown]
	v_fma_f16 v127, v33, 0x36a6, -v89
	v_fma_f16 v128, 0x36a6, v51, v90
	v_fmac_f16_e32 v89, 0x36a6, v33
	v_fma_f16 v90, v51, 0x36a6, -v90
	v_fma_f16 v129, v33, 0x3abb, -v91
	v_fma_f16 v130, 0x3abb, v51, v92
	v_fmac_f16_e32 v91, 0x3abb, v33
	v_fma_f16 v92, v51, 0x3abb, -v92
	;; [unrolled: 4-line block ×3, first 2 shown]
	v_fma_f16 v51, v54, 0xb93d, -v93
	v_fmac_f16_e32 v93, 0xb93d, v54
	v_fma_f16 v52, v54, 0xb08e, -v94
	v_fmac_f16_e32 v94, 0xb08e, v54
	;; [unrolled: 2-line block ×5, first 2 shown]
	v_fmamk_f16 v54, v57, 0xb93d, v97
	v_fma_f16 v97, v57, 0xb93d, -v97
	v_fma_f16 v136, 0xb08e, v57, v98
	v_fma_f16 v98, v57, 0xb08e, -v98
	v_fma_f16 v137, 0x3abb, v57, v99
	;; [unrolled: 2-line block ×4, first 2 shown]
	v_fma_f16 v56, v57, 0x36a6, -v56
	v_fma_f16 v57, v59, 0xbbad, -v101
	v_fmac_f16_e32 v101, 0xbbad, v59
	v_fma_f16 v140, v59, 0x3abb, -v102
	v_fmac_f16_e32 v102, 0x3abb, v59
	;; [unrolled: 2-line block ×5, first 2 shown]
	v_fmamk_f16 v59, v61, 0xbbad, v105
	v_fma_f16 v105, v61, 0xbbad, -v105
	v_fma_f16 v144, 0x3abb, v61, v106
	v_fma_f16 v106, v61, 0x3abb, -v106
	v_fma_f16 v145, 0xb93d, v61, v107
	v_fma_f16 v107, v61, 0xb93d, -v107
	v_fma_f16 v146, 0x36a6, v61, v108
	v_fma_f16 v108, v61, 0x36a6, -v108
	v_fma_f16 v147, 0xb08e, v61, v60
	v_fma_f16 v60, v61, 0xb08e, -v60
	v_add_f16_e32 v2, v23, v48
	v_add_f16_e32 v23, v24, v48
	;; [unrolled: 1-line block ×53, first 2 shown]
	v_add_f16_e64 v31, v128, v62
	v_add_f16_e32 v32, v89, v63
	v_add_f16_e32 v48, v90, v64
	v_add_f16_e64 v49, v129, v65
	v_add_f16_e64 v61, v130, v71
	v_add_f16_e32 v62, v91, v72
	v_add_f16_e32 v63, v92, v73
	v_add_f16_e64 v64, v131, v74
	v_add_f16_e64 v65, v132, v75
	v_add_f16_e32 v28, v53, v28
	v_add_f16_e32 v25, v33, v25
	;; [unrolled: 1-line block ×8, first 2 shown]
	v_add_f16_e64 v24, v136, v26
	v_add_f16_e32 v26, v94, v27
	v_add_f16_e32 v27, v98, v29
	v_add_f16_e64 v29, v133, v30
	v_add_f16_e64 v30, v137, v31
	v_add_f16_e32 v31, v95, v32
	v_add_f16_e32 v32, v99, v48
	v_add_f16_e64 v33, v134, v49
	;; [unrolled: 4-line block ×3, first 2 shown]
	v_add_f16_e64 v53, v139, v65
	v_add_f16_e32 v28, v55, v28
	v_add_f16_e32 v25, v56, v25
	;; [unrolled: 1-line block ×7, first 2 shown]
	v_add_f16_e64 v6, v140, v23
	v_add_f16_e64 v23, v144, v24
	v_add_f16_e32 v24, v102, v26
	v_add_f16_e32 v26, v106, v27
	v_add_f16_e64 v27, v141, v29
	v_add_f16_e64 v29, v145, v30
	v_add_f16_e32 v30, v103, v31
	v_add_f16_e32 v31, v107, v32
	;; [unrolled: 4-line block ×4, first 2 shown]
	v_lshlrev_b32_e32 v1, 16, v1
	v_and_b32_e32 v0, 0xffff, v0
	v_add_f16_e32 v4, v101, v4
	v_add_f16_e32 v5, v105, v5
	v_pack_b32_f16 v2, v2, v3
	v_pack_b32_f16 v3, v6, v23
	v_pack_b32_f16 v6, v27, v29
	v_pack_b32_f16 v7, v32, v33
	v_pack_b32_f16 v22, v51, v52
	v_pack_b32_f16 v23, v28, v25
	v_pack_b32_f16 v25, v48, v49
	v_pack_b32_f16 v27, v30, v31
	v_pack_b32_f16 v24, v24, v26
	v_or_b32_e32 v0, v1, v0
	v_pack_b32_f16 v4, v4, v5
	ds_store_2addr_b32 v50, v3, v6 offset0:4 offset1:6
	ds_store_2addr_b32 v50, v7, v22 offset0:8 offset1:10
	;; [unrolled: 1-line block ×4, first 2 shown]
	ds_store_2addr_b32 v50, v0, v2 offset1:2
	ds_store_b32 v50, v4 offset:80
	s_and_saveexec_b32 s1, s0
	s_cbranch_execz .LBB0_20
; %bb.19:
	v_and_b32_e32 v24, 1, v37
	v_lshrrev_b32_e32 v25, 1, v37
	v_lshrrev_b32_e32 v26, 16, v12
	s_delay_alu instid0(VALU_DEP_3) | instskip(NEXT) | instid1(VALU_DEP_3)
	v_mul_u32_u24_e32 v0, 10, v24
	v_mul_u32_u24_e32 v25, 22, v25
	s_delay_alu instid0(VALU_DEP_2) | instskip(NEXT) | instid1(VALU_DEP_2)
	v_lshlrev_b32_e32 v22, 2, v0
	v_or_b32_e32 v24, v25, v24
	v_lshrrev_b32_e32 v25, 16, v13
	s_clause 0x2
	global_load_b128 v[0:3], v22, s[4:5]
	global_load_b128 v[4:7], v22, s[4:5] offset:16
	global_load_b64 v[22:23], v22, s[4:5] offset:32
	v_lshlrev_b32_e32 v24, 2, v24
	s_delay_alu instid0(VALU_DEP_1)
	v_add3_u32 v24, 0, v24, v36
	s_wait_loadcnt 0x2
	v_lshrrev_b32_e32 v27, 16, v0
	v_lshrrev_b32_e32 v28, 16, v1
	s_wait_loadcnt 0x0
	v_lshrrev_b32_e32 v33, 16, v23
	v_lshrrev_b32_e32 v29, 16, v2
	;; [unrolled: 1-line block ×8, first 2 shown]
	v_mul_f16_e32 v51, v25, v27
	v_mul_f16_e32 v52, v47, v33
	;; [unrolled: 1-line block ×19, first 2 shown]
	v_fma_f16 v13, v13, v0, -v51
	v_fma_f16 v44, v44, v23, -v52
	v_fmac_f16_e32 v33, v47, v23
	v_fmac_f16_e32 v27, v25, v0
	v_fma_f16 v0, v14, v1, -v53
	v_fma_f16 v14, v21, v22, -v54
	v_fmac_f16_e32 v28, v39, v1
	v_fma_f16 v1, v15, v2, -v55
	v_fma_f16 v15, v20, v7, -v56
	v_fmac_f16_e32 v49, v45, v7
	v_fmac_f16_e32 v29, v41, v2
	v_fma_f16 v2, v16, v3, -v57
	v_fma_f16 v7, v19, v6, -v58
	v_fmac_f16_e32 v48, v43, v6
	;; [unrolled: 4-line block ×3, first 2 shown]
	v_fmac_f16_e32 v31, v38, v4
	v_sub_f16_e32 v4, v13, v44
	v_add_f16_e32 v5, v27, v33
	v_add_f16_e32 v25, v13, v44
	v_sub_f16_e32 v38, v27, v33
	v_add_f16_e32 v13, v12, v13
	v_add_f16_e32 v27, v26, v27
	v_mul_f16_e32 v50, v21, v50
	v_sub_f16_e32 v16, v0, v14
	v_add_f16_e32 v39, v0, v14
	v_add_f16_e32 v0, v13, v0
	v_add_f16_e32 v13, v27, v28
	v_fmac_f16_e32 v50, v46, v22
	v_sub_f16_e32 v20, v2, v7
	v_sub_f16_e32 v18, v1, v15
	;; [unrolled: 1-line block ×3, first 2 shown]
	v_add_f16_e32 v41, v1, v15
	v_add_f16_e32 v0, v0, v1
	;; [unrolled: 1-line block ×3, first 2 shown]
	v_sub_f16_e32 v40, v28, v50
	v_mul_f16_e32 v51, 0xb482, v4
	v_mul_f16_e32 v56, 0xb482, v38
	;; [unrolled: 1-line block ×8, first 2 shown]
	v_add_f16_e32 v17, v28, v50
	v_add_f16_e32 v21, v30, v48
	v_sub_f16_e32 v47, v31, v32
	v_mul_f16_e32 v52, 0x3853, v16
	v_mul_f16_e32 v54, 0x3b47, v20
	v_add_f16_e32 v19, v29, v49
	v_add_f16_e32 v23, v31, v32
	v_sub_f16_e32 v42, v29, v49
	v_sub_f16_e32 v45, v30, v48
	v_mul_f16_e32 v53, 0xba0c, v18
	v_mul_f16_e32 v55, 0xbbeb, v22
	;; [unrolled: 1-line block ×10, first 2 shown]
	v_add_f16_e32 v0, v0, v2
	v_add_f16_e32 v1, v1, v30
	v_mul_f16_e32 v57, 0x3853, v40
	v_mul_f16_e32 v67, 0x3beb, v40
	;; [unrolled: 1-line block ×15, first 2 shown]
	v_fmamk_f16 v27, v5, 0xbbad, v51
	v_fma_f16 v94, v25, 0xbbad, -v56
	v_fmamk_f16 v99, v5, 0xb93d, v61
	v_fma_f16 v104, v25, 0xb93d, -v66
	;; [unrolled: 2-line block ×4, first 2 shown]
	v_add_f16_e32 v46, v3, v6
	v_mul_f16_e32 v60, 0xbbeb, v47
	v_mul_f16_e32 v70, 0x3b47, v47
	;; [unrolled: 1-line block ×5, first 2 shown]
	v_fmamk_f16 v28, v17, 0x3abb, v52
	v_fmamk_f16 v92, v21, 0x36a6, v54
	v_fma_f16 v13, v5, 0xbbad, -v51
	v_fma_f16 v29, v17, 0x3abb, -v52
	;; [unrolled: 1-line block ×3, first 2 shown]
	v_fmac_f16_e32 v56, 0xbbad, v25
	v_fma_f16 v54, v5, 0xb93d, -v61
	v_fmac_f16_e32 v66, 0xb93d, v25
	v_add_f16_e32 v43, v2, v7
	v_mul_f16_e32 v58, 0xba0c, v42
	v_mul_f16_e32 v59, 0x3b47, v45
	;; [unrolled: 1-line block ×10, first 2 shown]
	v_fmamk_f16 v91, v19, 0xb93d, v53
	v_fmamk_f16 v93, v23, 0xb08e, v55
	;; [unrolled: 1-line block ×8, first 2 shown]
	v_fma_f16 v129, 0x3abb, v5, v4
	v_fma_f16 v134, v25, 0x3abb, -v38
	v_fma_f16 v51, v19, 0xb93d, -v53
	;; [unrolled: 1-line block ×10, first 2 shown]
	v_fmac_f16_e32 v76, 0xb08e, v25
	v_fma_f16 v74, v5, 0x36a6, -v81
	v_fmac_f16_e32 v86, 0x36a6, v25
	v_add_f16_e32 v0, v0, v3
	v_add_f16_e32 v1, v1, v31
	v_fma_f16 v95, v39, 0x3abb, -v57
	v_fma_f16 v105, v39, 0xb08e, -v67
	v_fmamk_f16 v111, v19, 0x36a6, v73
	v_fmamk_f16 v113, v23, 0xb93d, v75
	v_fma_f16 v115, v39, 0xbbad, -v77
	v_fmamk_f16 v120, v17, 0xb93d, v82
	v_fmamk_f16 v121, v19, 0xbbad, v83
	;; [unrolled: 1-line block ×4, first 2 shown]
	v_fma_f16 v125, v39, 0xb93d, -v87
	v_fma_f16 v130, 0x36a6, v17, v16
	v_fma_f16 v131, 0xb08e, v19, v18
	v_fma_f16 v132, 0xb93d, v21, v20
	v_fma_f16 v133, 0xbbad, v23, v22
	v_fma_f16 v135, v39, 0x36a6, -v40
	v_fmac_f16_e32 v57, 0x3abb, v39
	v_fmac_f16_e32 v67, 0xb08e, v39
	v_fma_f16 v71, v19, 0x36a6, -v73
	v_fma_f16 v73, v23, 0xb93d, -v75
	v_fmac_f16_e32 v77, 0xbbad, v39
	v_fma_f16 v75, v17, 0xb93d, -v82
	v_fma_f16 v81, v19, 0xbbad, -v83
	;; [unrolled: 1-line block ×4, first 2 shown]
	v_fmac_f16_e32 v87, 0xb93d, v39
	v_fma_f16 v4, v5, 0x3abb, -v4
	v_fma_f16 v5, v17, 0x36a6, -v16
	;; [unrolled: 1-line block ×5, first 2 shown]
	v_fmac_f16_e32 v38, 0x3abb, v25
	v_fmac_f16_e32 v40, 0x36a6, v39
	v_add_f16_e32 v19, v26, v27
	v_add_f16_e32 v20, v12, v94
	;; [unrolled: 1-line block ×8, first 2 shown]
	v_fma_f16 v98, v46, 0xb08e, -v60
	v_fma_f16 v108, v46, 0x36a6, -v70
	v_fma_f16 v118, v46, 0xb93d, -v80
	v_fma_f16 v128, v46, 0x3abb, -v90
	v_fma_f16 v138, v46, 0xbbad, -v47
	v_fmac_f16_e32 v60, 0xb08e, v46
	v_fmac_f16_e32 v70, 0x36a6, v46
	;; [unrolled: 1-line block ×5, first 2 shown]
	v_add_f16_e32 v2, v26, v13
	v_add_f16_e32 v13, v12, v56
	;; [unrolled: 1-line block ×4, first 2 shown]
	v_fma_f16 v96, v41, 0xb93d, -v58
	v_fma_f16 v97, v43, 0x36a6, -v59
	;; [unrolled: 1-line block ×10, first 2 shown]
	v_fmac_f16_e32 v58, 0xb93d, v41
	v_fmac_f16_e32 v59, 0x36a6, v43
	;; [unrolled: 1-line block ×10, first 2 shown]
	v_add_f16_e64 v41, v26, v129
	v_add_f16_e64 v43, v12, v134
	v_add_f16_e32 v54, v26, v64
	v_add_f16_e32 v56, v12, v76
	v_add_f16_e32 v64, v26, v74
	v_add_f16_e32 v66, v12, v86
	v_add_f16_e32 v0, v0, v6
	v_add_f16_e32 v1, v1, v32
	v_add_f16_e32 v4, v26, v4
	v_add_f16_e32 v12, v12, v38
	v_add_f16_e32 v19, v28, v19
	v_add_f16_e32 v20, v95, v20
	v_add_f16_e32 v21, v100, v21
	v_add_f16_e32 v22, v105, v22
	v_add_f16_e32 v23, v110, v23
	v_add_f16_e32 v25, v115, v25
	v_add_f16_e32 v26, v120, v27
	v_add_f16_e32 v27, v125, v39
	v_add_f16_e32 v2, v29, v2
	v_add_f16_e32 v3, v57, v13
	v_add_f16_e32 v13, v55, v30
	v_add_f16_e32 v29, v67, v46
	v_add_f16_e64 v28, v130, v41
	v_add_f16_e64 v38, v135, v43
	v_add_f16_e32 v30, v65, v54
	v_add_f16_e32 v31, v77, v56
	v_add_f16_e32 v39, v75, v64
	v_add_f16_e32 v41, v87, v66
	v_add_f16_e32 v0, v0, v7
	v_add_f16_e32 v1, v1, v48
	v_add_f16_e32 v4, v5, v4
	v_add_f16_e32 v5, v40, v12
	v_add_f16_e32 v12, v91, v19
	v_add_f16_e32 v19, v96, v20
	v_add_f16_e32 v20, v101, v21
	v_add_f16_e32 v21, v106, v22
	v_add_f16_e32 v22, v111, v23
	v_add_f16_e32 v23, v116, v25
	v_add_f16_e32 v25, v121, v26
	v_add_f16_e32 v26, v126, v27
	v_add_f16_e32 v2, v51, v2
	v_add_f16_e32 v3, v58, v3
	v_add_f16_e32 v6, v61, v13
	v_add_f16_e32 v13, v68, v29
	;; [unrolled: 22-line block ×3, first 2 shown]
	v_add_f16_e64 v26, v132, v27
	v_add_f16_e64 v27, v137, v28
	v_add_f16_e32 v13, v72, v29
	v_add_f16_e32 v28, v79, v30
	;; [unrolled: 1-line block ×13, first 2 shown]
	v_add_f16_e64 v23, v128, v25
	v_add_f16_e32 v12, v93, v12
	v_add_f16_e32 v16, v98, v16
	;; [unrolled: 1-line block ×6, first 2 shown]
	v_add_f16_e64 v25, v133, v26
	v_add_f16_e64 v26, v138, v27
	v_add_f16_e32 v13, v73, v13
	v_add_f16_e32 v15, v80, v28
	;; [unrolled: 1-line block ×8, first 2 shown]
	v_pack_b32_f16 v18, v23, v22
	v_pack_b32_f16 v20, v21, v20
	;; [unrolled: 1-line block ×11, first 2 shown]
	ds_store_2addr_b32 v24, v18, v20 offset0:4 offset1:6
	ds_store_2addr_b32 v24, v17, v12 offset0:8 offset1:10
	;; [unrolled: 1-line block ×4, first 2 shown]
	ds_store_2addr_b32 v24, v0, v14 offset1:2
	ds_store_b32 v24, v4 offset:80
.LBB0_20:
	s_wait_alu 0xfffe
	s_or_b32 exec_lo, exec_lo, s1
	v_lshrrev_b16 v0, 1, v8
	v_lshrrev_b16 v1, 1, v37
	global_wb scope:SCOPE_SE
	s_wait_dscnt 0x0
	s_barrier_signal -1
	s_barrier_wait -1
	v_and_b32_e32 v0, 0x7f, v0
	v_and_b32_e32 v1, 0x7f, v1
	global_inv scope:SCOPE_SE
	v_add_nc_u32_e32 v3, 0xa00, v9
	v_add_nc_u32_e32 v2, 0x200, v9
	v_mul_lo_u16 v0, 0xbb, v0
	v_add_nc_u32_e32 v4, 0x400, v9
	v_mul_u32_u24_e32 v42, 6, v8
	s_delay_alu instid0(VALU_DEP_3) | instskip(SKIP_1) | instid1(VALU_DEP_3)
	v_lshrrev_b16 v7, 11, v0
	v_mul_lo_u16 v0, 0xbb, v1
	v_lshlrev_b32_e32 v42, 2, v42
	s_delay_alu instid0(VALU_DEP_3) | instskip(NEXT) | instid1(VALU_DEP_3)
	v_mul_lo_u16 v1, v7, 22
	v_lshrrev_b16 v38, 11, v0
	v_and_b32_e32 v7, 0xffff, v7
	s_delay_alu instid0(VALU_DEP_3) | instskip(NEXT) | instid1(VALU_DEP_3)
	v_sub_nc_u16 v0, v8, v1
	v_mul_lo_u16 v1, v38, 22
	v_and_b32_e32 v38, 0xffff, v38
	s_delay_alu instid0(VALU_DEP_4) | instskip(NEXT) | instid1(VALU_DEP_4)
	v_mad_u32_u24 v7, 0x268, v7, 0
	v_and_b32_e32 v39, 0xff, v0
	s_delay_alu instid0(VALU_DEP_4) | instskip(NEXT) | instid1(VALU_DEP_4)
	v_sub_nc_u16 v0, v37, v1
	v_mad_u32_u24 v38, 0x268, v38, 0
	s_delay_alu instid0(VALU_DEP_3) | instskip(NEXT) | instid1(VALU_DEP_3)
	v_mul_u32_u24_e32 v1, 6, v39
	v_and_b32_e32 v37, 0xff, v0
	v_lshlrev_b32_e32 v39, 2, v39
	s_delay_alu instid0(VALU_DEP_3) | instskip(NEXT) | instid1(VALU_DEP_3)
	v_lshlrev_b32_e32 v0, 2, v1
	v_mul_u32_u24_e32 v1, 6, v37
	v_lshlrev_b32_e32 v37, 2, v37
	s_delay_alu instid0(VALU_DEP_4)
	v_add3_u32 v7, v7, v39, v36
	global_load_b128 v[12:15], v0, s[4:5] offset:80
	v_lshlrev_b32_e32 v1, 2, v1
	v_add3_u32 v36, v38, v37, v36
	s_clause 0x2
	global_load_b64 v[5:6], v0, s[4:5] offset:96
	global_load_b128 v[16:19], v1, s[4:5] offset:80
	global_load_b64 v[20:21], v1, s[4:5] offset:96
	v_add_nc_u32_e32 v0, 0xc00, v9
	v_add_nc_u32_e32 v1, 0x800, v9
	ds_load_2addr_b32 v[22:23], v9 offset0:77 offset1:154
	ds_load_b32 v40, v35
	ds_load_b32 v41, v9 offset:4004
	ds_load_2addr_b32 v[24:25], v3 offset0:53 offset1:130
	ds_load_2addr_b32 v[26:27], v0 offset0:79 offset1:156
	;; [unrolled: 1-line block ×5, first 2 shown]
	global_wb scope:SCOPE_SE
	s_wait_loadcnt_dscnt 0x0
	s_barrier_signal -1
	s_barrier_wait -1
	global_inv scope:SCOPE_SE
	v_lshrrev_b32_e32 v44, 16, v23
	v_lshrrev_b32_e32 v47, 16, v25
	;; [unrolled: 1-line block ×26, first 2 shown]
	v_mul_f16_e32 v66, v37, v44
	v_mul_f16_e32 v37, v37, v23
	;; [unrolled: 1-line block ×24, first 2 shown]
	v_fma_f16 v23, v12, v23, -v66
	v_fmac_f16_e32 v37, v12, v44
	v_fma_f16 v12, v13, v29, -v67
	v_fmac_f16_e32 v38, v13, v54
	v_fma_f16 v13, v14, v31, -v68
	v_fmac_f16_e32 v39, v14, v55
	v_fma_f16 v14, v15, v33, -v69
	v_fmac_f16_e32 v57, v15, v56
	v_fma_f16 v15, v25, v5, -v70
	v_fmac_f16_e32 v58, v47, v5
	v_fma_f16 v5, v27, v6, -v71
	v_fmac_f16_e32 v59, v48, v6
	v_fma_f16 v6, v28, v16, -v72
	v_fmac_f16_e32 v60, v49, v16
	v_fma_f16 v16, v30, v17, -v73
	v_fmac_f16_e32 v61, v50, v17
	v_fma_f16 v17, v32, v18, -v74
	v_fmac_f16_e32 v62, v51, v18
	v_fma_f16 v18, v24, v19, -v75
	v_fmac_f16_e32 v63, v52, v19
	v_fma_f16 v19, v26, v20, -v76
	v_fmac_f16_e32 v64, v53, v20
	v_fma_f16 v20, v41, v21, -v77
	v_fmac_f16_e32 v65, v43, v21
	v_add_f16_e32 v21, v23, v5
	v_add_f16_e32 v24, v37, v59
	;; [unrolled: 1-line block ×4, first 2 shown]
	v_sub_f16_e32 v5, v23, v5
	v_sub_f16_e32 v23, v37, v59
	;; [unrolled: 1-line block ×4, first 2 shown]
	v_add_f16_e32 v27, v13, v14
	v_add_f16_e32 v28, v39, v57
	v_sub_f16_e32 v13, v14, v13
	v_sub_f16_e32 v14, v57, v39
	v_add_f16_e32 v29, v6, v20
	v_add_f16_e32 v30, v60, v65
	;; [unrolled: 1-line block ×4, first 2 shown]
	v_sub_f16_e32 v6, v6, v20
	v_sub_f16_e32 v16, v16, v19
	v_add_f16_e32 v33, v17, v18
	v_add_f16_e32 v37, v62, v63
	v_sub_f16_e32 v17, v18, v17
	v_add_f16_e32 v38, v25, v21
	v_add_f16_e32 v39, v26, v24
	v_sub_f16_e32 v20, v60, v65
	v_sub_f16_e32 v19, v61, v64
	;; [unrolled: 1-line block ×9, first 2 shown]
	v_add_f16_e32 v44, v13, v12
	v_add_f16_e32 v47, v14, v15
	v_sub_f16_e32 v48, v13, v12
	v_sub_f16_e32 v49, v14, v15
	v_sub_f16_e32 v12, v12, v5
	v_sub_f16_e32 v15, v15, v23
	v_add_f16_e32 v50, v31, v29
	v_add_f16_e32 v51, v32, v30
	v_sub_f16_e32 v52, v31, v29
	v_sub_f16_e32 v53, v32, v30
	;; [unrolled: 1-line block ×4, first 2 shown]
	v_add_f16_e32 v54, v17, v16
	v_sub_f16_e32 v56, v17, v16
	v_sub_f16_e32 v16, v16, v6
	v_add_f16_e32 v27, v27, v38
	v_add_f16_e32 v28, v28, v39
	v_sub_f16_e32 v13, v5, v13
	v_sub_f16_e32 v14, v23, v14
	;; [unrolled: 1-line block ×4, first 2 shown]
	v_add_f16_e32 v55, v18, v19
	v_sub_f16_e32 v57, v18, v19
	v_sub_f16_e32 v19, v19, v20
	v_add_f16_e32 v5, v44, v5
	v_add_f16_e32 v23, v47, v23
	v_mul_f16_e32 v21, 0x3a52, v21
	v_mul_f16_e32 v24, 0x3a52, v24
	;; [unrolled: 1-line block ×8, first 2 shown]
	v_add_f16_e32 v33, v33, v50
	v_add_f16_e32 v37, v37, v51
	v_sub_f16_e32 v17, v6, v17
	v_add_f16_e32 v6, v54, v6
	v_mul_f16_e32 v50, 0x2b26, v31
	v_mul_f16_e32 v51, 0x2b26, v32
	;; [unrolled: 1-line block ×4, first 2 shown]
	v_add_f16_e32 v40, v27, v40
	v_add_f16_e32 v45, v28, v45
	v_sub_f16_e32 v18, v20, v18
	v_add_f16_e32 v20, v55, v20
	v_mul_f16_e32 v29, 0x3a52, v29
	v_mul_f16_e32 v30, 0x3a52, v30
	;; [unrolled: 1-line block ×4, first 2 shown]
	v_fmamk_f16 v25, v25, 0x2b26, v21
	v_fmamk_f16 v26, v26, 0x2b26, v24
	v_fma_f16 v38, v41, 0x39e0, -v38
	v_fma_f16 v39, v43, 0x39e0, -v39
	;; [unrolled: 1-line block ×4, first 2 shown]
	v_fmamk_f16 v41, v13, 0x3574, v44
	v_fmamk_f16 v43, v14, 0x3574, v47
	v_fma_f16 v12, v12, 0x3b00, -v44
	v_fma_f16 v15, v15, 0x3b00, -v47
	v_fma_f16 v13, v13, 0xb574, -v48
	v_fma_f16 v14, v14, 0xb574, -v49
	v_add_f16_e32 v22, v33, v22
	v_add_f16_e32 v44, v37, v46
	v_fma_f16 v46, v52, 0x39e0, -v50
	v_fma_f16 v47, v53, 0x39e0, -v51
	v_fmamk_f16 v48, v17, 0x3574, v54
	v_fma_f16 v16, v16, 0x3b00, -v54
	v_fma_f16 v17, v17, 0xb574, -v56
	v_lshlrev_b32_e32 v50, 16, v45
	v_and_b32_e32 v51, 0xffff, v40
	v_fmac_f16_e32 v40, 0xbcab, v27
	v_fmac_f16_e32 v45, 0xbcab, v28
	v_fmamk_f16 v31, v31, 0x2b26, v29
	v_fmamk_f16 v32, v32, 0x2b26, v30
	v_fma_f16 v29, v52, 0xb9e0, -v29
	v_fma_f16 v30, v53, 0xb9e0, -v30
	v_fmamk_f16 v49, v18, 0x3574, v55
	v_fma_f16 v19, v19, 0x3b00, -v55
	v_fma_f16 v18, v18, 0xb574, -v57
	v_fmac_f16_e32 v41, 0x370e, v5
	v_fmac_f16_e32 v43, 0x370e, v23
	;; [unrolled: 1-line block ×6, first 2 shown]
	v_fmamk_f16 v5, v33, 0xbcab, v22
	v_fmamk_f16 v23, v37, 0xbcab, v44
	v_fmac_f16_e32 v48, 0x370e, v6
	v_fmac_f16_e32 v16, 0x370e, v6
	;; [unrolled: 1-line block ×3, first 2 shown]
	v_pack_b32_f16 v6, v22, v44
	v_add_f16_e32 v22, v25, v40
	v_add_f16_e32 v25, v26, v45
	;; [unrolled: 1-line block ×6, first 2 shown]
	v_fmac_f16_e32 v49, 0x370e, v20
	v_fmac_f16_e32 v19, 0x370e, v20
	;; [unrolled: 1-line block ×3, first 2 shown]
	v_add_f16_e32 v28, v31, v5
	v_add_f16_e32 v31, v32, v23
	;; [unrolled: 1-line block ×7, first 2 shown]
	v_sub_f16_e32 v30, v25, v41
	v_add_f16_e32 v37, v14, v21
	v_sub_f16_e32 v38, v24, v13
	v_sub_f16_e32 v39, v26, v15
	v_add_f16_e32 v40, v12, v27
	v_add_f16_e32 v15, v15, v26
	v_sub_f16_e32 v12, v27, v12
	v_sub_f16_e32 v14, v21, v14
	v_add_f16_e32 v13, v13, v24
	v_sub_f16_e32 v21, v22, v43
	v_add_f16_e32 v22, v41, v25
	v_add_f16_e32 v24, v49, v28
	v_sub_f16_e32 v25, v31, v48
	v_add_f16_e32 v26, v18, v5
	v_sub_f16_e32 v27, v23, v17
	v_sub_f16_e32 v41, v32, v19
	v_add_f16_e32 v43, v16, v33
	v_add_f16_e32 v19, v19, v32
	v_sub_f16_e32 v16, v33, v16
	v_sub_f16_e32 v5, v5, v18
	v_add_f16_e32 v17, v17, v23
	v_sub_f16_e32 v18, v28, v49
	v_add_f16_e32 v23, v48, v31
	v_or_b32_e32 v20, v50, v51
	v_pack_b32_f16 v28, v29, v30
	v_pack_b32_f16 v29, v37, v38
	;; [unrolled: 1-line block ×12, first 2 shown]
	ds_store_2addr_b32 v7, v20, v28 offset1:22
	ds_store_2addr_b32 v7, v29, v30 offset0:44 offset1:66
	ds_store_2addr_b32 v7, v12, v13 offset0:88 offset1:110
	ds_store_b32 v7, v14 offset:528
	ds_store_2addr_b32 v36, v6, v15 offset1:22
	ds_store_2addr_b32 v36, v21, v22 offset0:44 offset1:66
	ds_store_2addr_b32 v36, v16, v5 offset0:88 offset1:110
	ds_store_b32 v36, v17 offset:528
	global_wb scope:SCOPE_SE
	s_wait_dscnt 0x0
	s_barrier_signal -1
	s_barrier_wait -1
	global_inv scope:SCOPE_SE
	s_clause 0x3
	global_load_b128 v[12:15], v42, s[4:5] offset:608
	global_load_b64 v[5:6], v42, s[4:5] offset:624
	global_load_b128 v[16:19], v42, s[4:5] offset:2456
	global_load_b64 v[20:21], v42, s[4:5] offset:2472
	ds_load_2addr_b32 v[22:23], v0 offset0:79 offset1:156
	ds_load_2addr_b32 v[24:25], v2 offset0:103 offset1:180
	;; [unrolled: 1-line block ×5, first 2 shown]
	ds_load_b32 v7, v9 offset:4004
	ds_load_2addr_b32 v[30:31], v9 offset0:77 offset1:154
	ds_load_b32 v32, v35
	global_wb scope:SCOPE_SE
	s_wait_loadcnt_dscnt 0x0
	s_barrier_signal -1
	s_barrier_wait -1
	global_inv scope:SCOPE_SE
	v_add_nc_u32_e32 v33, 0x600, v9
	v_add_nc_u32_e32 v35, 0x300, v9
	v_lshrrev_b32_e32 v36, 16, v23
	v_lshrrev_b32_e32 v44, 16, v25
	;; [unrolled: 1-line block ×26, first 2 shown]
	v_mul_f16_e32 v62, v50, v43
	v_mul_f16_e32 v50, v50, v31
	;; [unrolled: 1-line block ×24, first 2 shown]
	v_fma_f16 v31, v12, v31, -v62
	v_fmac_f16_e32 v50, v12, v43
	v_fma_f16 v12, v13, v25, -v63
	v_fmac_f16_e32 v51, v13, v44
	v_fma_f16 v4, v5, v4, -v66
	v_fmac_f16_e32 v54, v5, v47
	v_fma_f16 v5, v23, v6, -v67
	v_fmac_f16_e32 v55, v36, v6
	v_fma_f16 v13, v14, v27, -v64
	v_fmac_f16_e32 v52, v14, v45
	v_fma_f16 v14, v15, v29, -v65
	v_fmac_f16_e32 v53, v15, v46
	v_fma_f16 v6, v24, v16, -v68
	v_fmac_f16_e32 v56, v37, v16
	v_fma_f16 v15, v26, v17, -v69
	v_fmac_f16_e32 v57, v38, v17
	v_fma_f16 v17, v22, v20, -v72
	v_fmac_f16_e32 v60, v41, v20
	v_fma_f16 v7, v7, v21, -v73
	v_fmac_f16_e32 v61, v42, v21
	v_fma_f16 v16, v28, v18, -v70
	v_fmac_f16_e32 v58, v39, v18
	v_fma_f16 v3, v3, v19, -v71
	v_fmac_f16_e32 v59, v40, v19
	v_add_f16_e32 v18, v31, v5
	v_add_f16_e32 v19, v50, v55
	;; [unrolled: 1-line block ×4, first 2 shown]
	v_sub_f16_e32 v5, v31, v5
	v_sub_f16_e32 v20, v50, v55
	;; [unrolled: 1-line block ×4, first 2 shown]
	v_add_f16_e32 v23, v13, v14
	v_add_f16_e32 v24, v52, v53
	v_sub_f16_e32 v13, v14, v13
	v_sub_f16_e32 v14, v53, v52
	v_add_f16_e32 v25, v6, v7
	v_add_f16_e32 v26, v56, v61
	;; [unrolled: 1-line block ×8, first 2 shown]
	v_sub_f16_e32 v6, v6, v7
	v_sub_f16_e32 v7, v56, v61
	;; [unrolled: 1-line block ×12, first 2 shown]
	v_add_f16_e32 v40, v13, v4
	v_add_f16_e32 v41, v14, v12
	v_sub_f16_e32 v42, v13, v4
	v_sub_f16_e32 v43, v14, v12
	;; [unrolled: 1-line block ×4, first 2 shown]
	v_add_f16_e32 v44, v27, v25
	v_add_f16_e32 v45, v28, v26
	v_sub_f16_e32 v46, v27, v25
	v_sub_f16_e32 v47, v28, v26
	v_sub_f16_e32 v25, v25, v29
	v_sub_f16_e32 v27, v29, v27
	v_sub_f16_e32 v28, v31, v28
	v_add_f16_e32 v23, v23, v36
	v_add_f16_e32 v24, v24, v37
	v_sub_f16_e32 v13, v5, v13
	v_sub_f16_e32 v14, v20, v14
	;; [unrolled: 1-line block ×3, first 2 shown]
	v_add_f16_e32 v50, v3, v15
	v_add_f16_e32 v51, v16, v17
	v_sub_f16_e32 v52, v3, v15
	v_sub_f16_e32 v53, v16, v17
	;; [unrolled: 1-line block ×4, first 2 shown]
	v_add_f16_e32 v5, v40, v5
	v_add_f16_e32 v20, v41, v20
	v_mul_f16_e32 v18, 0x3a52, v18
	v_mul_f16_e32 v19, 0x3a52, v19
	;; [unrolled: 1-line block ×8, first 2 shown]
	v_add_f16_e32 v29, v29, v44
	v_add_f16_e32 v31, v31, v45
	v_mul_f16_e32 v25, 0x3a52, v25
	v_mul_f16_e32 v44, 0x2b26, v27
	;; [unrolled: 1-line block ×3, first 2 shown]
	v_add_f16_e32 v32, v23, v32
	v_add_f16_e32 v48, v24, v48
	v_sub_f16_e32 v3, v6, v3
	v_sub_f16_e32 v16, v7, v16
	v_add_f16_e32 v6, v50, v6
	v_add_f16_e32 v7, v51, v7
	v_mul_f16_e32 v26, 0x3a52, v26
	v_mul_f16_e32 v50, 0xb846, v52
	;; [unrolled: 1-line block ×5, first 2 shown]
	v_fmamk_f16 v21, v21, 0x2b26, v18
	v_fmamk_f16 v22, v22, 0x2b26, v19
	v_fma_f16 v36, v38, 0x39e0, -v36
	v_fma_f16 v37, v39, 0x39e0, -v37
	;; [unrolled: 1-line block ×4, first 2 shown]
	v_fmamk_f16 v38, v13, 0x3574, v40
	v_fmamk_f16 v39, v14, 0x3574, v41
	v_fma_f16 v4, v4, 0x3b00, -v40
	v_fma_f16 v12, v12, 0x3b00, -v41
	;; [unrolled: 1-line block ×4, first 2 shown]
	v_add_f16_e32 v30, v29, v30
	v_add_f16_e32 v40, v31, v49
	v_fmamk_f16 v27, v27, 0x2b26, v25
	v_fma_f16 v41, v46, 0x39e0, -v44
	v_fma_f16 v42, v47, 0x39e0, -v45
	;; [unrolled: 1-line block ×3, first 2 shown]
	v_lshlrev_b32_e32 v45, 16, v48
	v_and_b32_e32 v46, 0xffff, v32
	v_fmac_f16_e32 v32, 0xbcab, v23
	v_fmac_f16_e32 v48, 0xbcab, v24
	v_fmamk_f16 v28, v28, 0x2b26, v26
	v_fma_f16 v26, v47, 0xb9e0, -v26
	v_fmamk_f16 v43, v3, 0x3574, v50
	v_fmamk_f16 v44, v16, 0x3574, v51
	v_fma_f16 v15, v15, 0x3b00, -v50
	v_fma_f16 v3, v3, 0xb574, -v52
	;; [unrolled: 1-line block ×3, first 2 shown]
	v_fmac_f16_e32 v38, 0x370e, v5
	v_fmac_f16_e32 v39, 0x370e, v20
	;; [unrolled: 1-line block ×6, first 2 shown]
	v_fmamk_f16 v5, v29, 0xbcab, v30
	v_fmamk_f16 v20, v31, 0xbcab, v40
	v_fma_f16 v17, v17, 0x3b00, -v51
	v_add_f16_e32 v21, v21, v32
	v_add_f16_e32 v22, v22, v48
	;; [unrolled: 1-line block ×6, first 2 shown]
	v_fmac_f16_e32 v43, 0x370e, v6
	v_fmac_f16_e32 v44, 0x370e, v7
	v_fmac_f16_e32 v15, 0x370e, v6
	v_fmac_f16_e32 v3, 0x370e, v6
	v_fmac_f16_e32 v16, 0x370e, v7
	v_pack_b32_f16 v6, v30, v40
	v_add_f16_e32 v27, v27, v5
	v_add_f16_e32 v28, v28, v20
	;; [unrolled: 1-line block ×6, first 2 shown]
	v_fmac_f16_e32 v17, 0x370e, v7
	v_or_b32_e32 v7, v45, v46
	v_add_f16_e32 v25, v39, v21
	v_sub_f16_e32 v26, v22, v38
	v_add_f16_e32 v31, v14, v18
	v_sub_f16_e32 v32, v19, v13
	v_sub_f16_e32 v36, v23, v12
	v_add_f16_e32 v37, v4, v24
	v_add_f16_e32 v12, v12, v23
	v_sub_f16_e32 v4, v24, v4
	v_sub_f16_e32 v14, v18, v14
	v_add_f16_e32 v13, v13, v19
	v_sub_f16_e32 v18, v21, v39
	v_add_f16_e32 v19, v38, v22
	v_add_f16_e32 v21, v44, v27
	v_sub_f16_e32 v22, v28, v43
	v_add_f16_e32 v23, v16, v5
	v_sub_f16_e32 v24, v20, v3
	v_sub_f16_e32 v38, v29, v17
	v_add_f16_e32 v39, v15, v30
	v_add_f16_e32 v17, v17, v29
	v_sub_f16_e32 v15, v30, v15
	v_sub_f16_e32 v5, v5, v16
	v_add_f16_e32 v3, v3, v20
	v_sub_f16_e32 v16, v27, v44
	v_add_f16_e32 v20, v43, v28
	ds_store_2addr_b32 v9, v7, v6 offset1:77
	v_pack_b32_f16 v6, v25, v26
	v_pack_b32_f16 v7, v31, v32
	;; [unrolled: 1-line block ×12, first 2 shown]
	ds_store_2addr_b32 v2, v6, v7 offset0:26 offset1:180
	ds_store_2addr_b32 v33, v9, v4 offset0:78 offset1:232
	;; [unrolled: 1-line block ×6, first 2 shown]
	global_wb scope:SCOPE_SE
	s_wait_dscnt 0x0
	s_barrier_signal -1
	s_barrier_wait -1
	global_inv scope:SCOPE_SE
	s_and_saveexec_b32 s0, vcc_lo
	s_cbranch_execz .LBB0_22
; %bb.21:
	v_dual_mov_b32 v9, 0 :: v_dual_add_nc_u32 v0, 0x4d, v8
	v_add_co_u32 v29, vcc_lo, s8, v10
	v_lshl_add_u32 v28, v8, 2, v34
	s_delay_alu instid0(VALU_DEP_3)
	v_dual_mov_b32 v1, v9 :: v_dual_add_nc_u32 v6, 0x9a, v8
	v_lshlrev_b64_e32 v[2:3], 2, v[8:9]
	v_dual_mov_b32 v7, v9 :: v_dual_add_nc_u32 v10, 0xe7, v8
	s_wait_alu 0xfffd
	v_add_co_ci_u32_e32 v30, vcc_lo, s9, v11, vcc_lo
	v_lshlrev_b64_e32 v[0:1], 2, v[0:1]
	v_dual_mov_b32 v11, v9 :: v_dual_add_nc_u32 v14, 0x134, v8
	v_add_co_u32 v2, vcc_lo, v29, v2
	v_lshlrev_b64_e32 v[6:7], 2, v[6:7]
	v_dual_mov_b32 v15, v9 :: v_dual_add_nc_u32 v16, 0x400, v28
	s_wait_alu 0xfffd
	v_add_co_ci_u32_e32 v3, vcc_lo, v30, v3, vcc_lo
	ds_load_2addr_b32 v[4:5], v28 offset1:77
	v_add_co_u32 v0, vcc_lo, v29, v0
	v_lshlrev_b64_e32 v[10:11], 2, v[10:11]
	v_dual_mov_b32 v19, v9 :: v_dual_add_nc_u32 v18, 0x181, v8
	v_dual_mov_b32 v23, v9 :: v_dual_add_nc_u32 v24, 0x600, v28
	s_wait_alu 0xfffd
	v_add_co_ci_u32_e32 v1, vcc_lo, v30, v1, vcc_lo
	ds_load_2addr_b32 v[12:13], v28 offset0:154 offset1:231
	v_add_co_u32 v6, vcc_lo, v29, v6
	v_lshlrev_b64_e32 v[14:15], 2, v[14:15]
	ds_load_2addr_b32 v[16:17], v16 offset0:52 offset1:129
	v_dual_mov_b32 v21, v9 :: v_dual_add_nc_u32 v20, 0x1ce, v8
	s_wait_alu 0xfffd
	v_add_co_ci_u32_e32 v7, vcc_lo, v30, v7, vcc_lo
	v_add_co_u32 v10, vcc_lo, v29, v10
	v_lshlrev_b64_e32 v[18:19], 2, v[18:19]
	ds_load_2addr_b32 v[24:25], v24 offset0:78 offset1:155
	v_dual_mov_b32 v27, v9 :: v_dual_add_nc_u32 v22, 0x21b, v8
	s_wait_alu 0xfffd
	v_add_co_ci_u32_e32 v11, vcc_lo, v30, v11, vcc_lo
	v_add_co_u32 v14, vcc_lo, v29, v14
	v_lshlrev_b64_e32 v[20:21], 2, v[20:21]
	s_wait_alu 0xfffd
	v_add_co_ci_u32_e32 v15, vcc_lo, v30, v15, vcc_lo
	v_add_co_u32 v18, vcc_lo, v29, v18
	v_lshlrev_b64_e32 v[22:23], 2, v[22:23]
	s_wait_alu 0xfffd
	v_add_co_ci_u32_e32 v19, vcc_lo, v30, v19, vcc_lo
	v_add_co_u32 v20, vcc_lo, v29, v20
	s_wait_alu 0xfffd
	v_add_co_ci_u32_e32 v21, vcc_lo, v30, v21, vcc_lo
	v_add_nc_u32_e32 v26, 0x268, v8
	v_add_co_u32 v22, vcc_lo, v29, v22
	s_wait_alu 0xfffd
	v_add_co_ci_u32_e32 v23, vcc_lo, v30, v23, vcc_lo
	v_add_nc_u32_e32 v31, 0x800, v28
	s_wait_dscnt 0x3
	s_clause 0x1
	global_store_b32 v[2:3], v4, off
	global_store_b32 v[0:1], v5, off
	s_wait_dscnt 0x2
	s_clause 0x1
	global_store_b32 v[6:7], v12, off
	global_store_b32 v[10:11], v13, off
	;; [unrolled: 4-line block ×4, first 2 shown]
	v_dual_mov_b32 v3, v9 :: v_dual_add_nc_u32 v2, 0x2b5, v8
	v_mov_b32_e32 v7, v9
	v_lshlrev_b64_e32 v[26:27], 2, v[26:27]
	v_dual_mov_b32 v15, v9 :: v_dual_add_nc_u32 v16, 0xc00, v28
	v_dual_mov_b32 v11, v9 :: v_dual_add_nc_u32 v6, 0x302, v8
	ds_load_2addr_b32 v[0:1], v31 offset0:104 offset1:181
	v_lshlrev_b64_e32 v[2:3], 2, v[2:3]
	v_add_nc_u32_e32 v10, 0x34f, v8
	ds_load_2addr_b32 v[12:13], v16 offset0:2 offset1:79
	v_add_co_u32 v4, vcc_lo, v29, v26
	v_lshlrev_b64_e32 v[6:7], 2, v[6:7]
	v_add_nc_u32_e32 v14, 0x39c, v8
	ds_load_2addr_b32 v[16:17], v16 offset0:156 offset1:233
	s_wait_alu 0xfffd
	v_add_co_ci_u32_e32 v5, vcc_lo, v30, v27, vcc_lo
	v_add_co_u32 v2, vcc_lo, v29, v2
	v_lshlrev_b64_e32 v[10:11], 2, v[10:11]
	v_add_nc_u32_e32 v8, 0x3e9, v8
	s_wait_alu 0xfffd
	v_add_co_ci_u32_e32 v3, vcc_lo, v30, v3, vcc_lo
	v_add_co_u32 v6, vcc_lo, v29, v6
	v_lshlrev_b64_e32 v[14:15], 2, v[14:15]
	s_wait_alu 0xfffd
	v_add_co_ci_u32_e32 v7, vcc_lo, v30, v7, vcc_lo
	v_add_co_u32 v10, vcc_lo, v29, v10
	v_lshlrev_b64_e32 v[8:9], 2, v[8:9]
	s_wait_alu 0xfffd
	v_add_co_ci_u32_e32 v11, vcc_lo, v30, v11, vcc_lo
	v_add_co_u32 v14, vcc_lo, v29, v14
	s_wait_alu 0xfffd
	v_add_co_ci_u32_e32 v15, vcc_lo, v30, v15, vcc_lo
	v_add_co_u32 v8, vcc_lo, v29, v8
	s_wait_alu 0xfffd
	v_add_co_ci_u32_e32 v9, vcc_lo, v30, v9, vcc_lo
	s_wait_dscnt 0x2
	s_clause 0x1
	global_store_b32 v[4:5], v0, off
	global_store_b32 v[2:3], v1, off
	s_wait_dscnt 0x1
	s_clause 0x1
	global_store_b32 v[6:7], v12, off
	global_store_b32 v[10:11], v13, off
	;; [unrolled: 4-line block ×3, first 2 shown]
.LBB0_22:
	s_nop 0
	s_sendmsg sendmsg(MSG_DEALLOC_VGPRS)
	s_endpgm
	.section	.rodata,"a",@progbits
	.p2align	6, 0x0
	.amdhsa_kernel fft_rtc_fwd_len1078_factors_2_11_7_7_wgs_231_tpt_77_halfLds_half_ip_CI_unitstride_sbrr_C2R_dirReg
		.amdhsa_group_segment_fixed_size 0
		.amdhsa_private_segment_fixed_size 0
		.amdhsa_kernarg_size 88
		.amdhsa_user_sgpr_count 2
		.amdhsa_user_sgpr_dispatch_ptr 0
		.amdhsa_user_sgpr_queue_ptr 0
		.amdhsa_user_sgpr_kernarg_segment_ptr 1
		.amdhsa_user_sgpr_dispatch_id 0
		.amdhsa_user_sgpr_private_segment_size 0
		.amdhsa_wavefront_size32 1
		.amdhsa_uses_dynamic_stack 0
		.amdhsa_enable_private_segment 0
		.amdhsa_system_sgpr_workgroup_id_x 1
		.amdhsa_system_sgpr_workgroup_id_y 0
		.amdhsa_system_sgpr_workgroup_id_z 0
		.amdhsa_system_sgpr_workgroup_info 0
		.amdhsa_system_vgpr_workitem_id 0
		.amdhsa_next_free_vgpr 148
		.amdhsa_next_free_sgpr 32
		.amdhsa_reserve_vcc 1
		.amdhsa_float_round_mode_32 0
		.amdhsa_float_round_mode_16_64 0
		.amdhsa_float_denorm_mode_32 3
		.amdhsa_float_denorm_mode_16_64 3
		.amdhsa_fp16_overflow 0
		.amdhsa_workgroup_processor_mode 1
		.amdhsa_memory_ordered 1
		.amdhsa_forward_progress 0
		.amdhsa_round_robin_scheduling 0
		.amdhsa_exception_fp_ieee_invalid_op 0
		.amdhsa_exception_fp_denorm_src 0
		.amdhsa_exception_fp_ieee_div_zero 0
		.amdhsa_exception_fp_ieee_overflow 0
		.amdhsa_exception_fp_ieee_underflow 0
		.amdhsa_exception_fp_ieee_inexact 0
		.amdhsa_exception_int_div_zero 0
	.end_amdhsa_kernel
	.text
.Lfunc_end0:
	.size	fft_rtc_fwd_len1078_factors_2_11_7_7_wgs_231_tpt_77_halfLds_half_ip_CI_unitstride_sbrr_C2R_dirReg, .Lfunc_end0-fft_rtc_fwd_len1078_factors_2_11_7_7_wgs_231_tpt_77_halfLds_half_ip_CI_unitstride_sbrr_C2R_dirReg
                                        ; -- End function
	.section	.AMDGPU.csdata,"",@progbits
; Kernel info:
; codeLenInByte = 13472
; NumSgprs: 34
; NumVgprs: 148
; ScratchSize: 0
; MemoryBound: 0
; FloatMode: 240
; IeeeMode: 1
; LDSByteSize: 0 bytes/workgroup (compile time only)
; SGPRBlocks: 4
; VGPRBlocks: 18
; NumSGPRsForWavesPerEU: 34
; NumVGPRsForWavesPerEU: 148
; Occupancy: 9
; WaveLimiterHint : 1
; COMPUTE_PGM_RSRC2:SCRATCH_EN: 0
; COMPUTE_PGM_RSRC2:USER_SGPR: 2
; COMPUTE_PGM_RSRC2:TRAP_HANDLER: 0
; COMPUTE_PGM_RSRC2:TGID_X_EN: 1
; COMPUTE_PGM_RSRC2:TGID_Y_EN: 0
; COMPUTE_PGM_RSRC2:TGID_Z_EN: 0
; COMPUTE_PGM_RSRC2:TIDIG_COMP_CNT: 0
	.text
	.p2alignl 7, 3214868480
	.fill 96, 4, 3214868480
	.type	__hip_cuid_2b6e2e50f06d9413,@object ; @__hip_cuid_2b6e2e50f06d9413
	.section	.bss,"aw",@nobits
	.globl	__hip_cuid_2b6e2e50f06d9413
__hip_cuid_2b6e2e50f06d9413:
	.byte	0                               ; 0x0
	.size	__hip_cuid_2b6e2e50f06d9413, 1

	.ident	"AMD clang version 19.0.0git (https://github.com/RadeonOpenCompute/llvm-project roc-6.4.0 25133 c7fe45cf4b819c5991fe208aaa96edf142730f1d)"
	.section	".note.GNU-stack","",@progbits
	.addrsig
	.addrsig_sym __hip_cuid_2b6e2e50f06d9413
	.amdgpu_metadata
---
amdhsa.kernels:
  - .args:
      - .actual_access:  read_only
        .address_space:  global
        .offset:         0
        .size:           8
        .value_kind:     global_buffer
      - .offset:         8
        .size:           8
        .value_kind:     by_value
      - .actual_access:  read_only
        .address_space:  global
        .offset:         16
        .size:           8
        .value_kind:     global_buffer
      - .actual_access:  read_only
        .address_space:  global
        .offset:         24
        .size:           8
        .value_kind:     global_buffer
      - .offset:         32
        .size:           8
        .value_kind:     by_value
      - .actual_access:  read_only
        .address_space:  global
        .offset:         40
        .size:           8
        .value_kind:     global_buffer
      - .actual_access:  read_only
        .address_space:  global
        .offset:         48
        .size:           8
        .value_kind:     global_buffer
      - .offset:         56
        .size:           4
        .value_kind:     by_value
      - .actual_access:  read_only
        .address_space:  global
        .offset:         64
        .size:           8
        .value_kind:     global_buffer
      - .actual_access:  read_only
        .address_space:  global
        .offset:         72
        .size:           8
        .value_kind:     global_buffer
      - .address_space:  global
        .offset:         80
        .size:           8
        .value_kind:     global_buffer
    .group_segment_fixed_size: 0
    .kernarg_segment_align: 8
    .kernarg_segment_size: 88
    .language:       OpenCL C
    .language_version:
      - 2
      - 0
    .max_flat_workgroup_size: 231
    .name:           fft_rtc_fwd_len1078_factors_2_11_7_7_wgs_231_tpt_77_halfLds_half_ip_CI_unitstride_sbrr_C2R_dirReg
    .private_segment_fixed_size: 0
    .sgpr_count:     34
    .sgpr_spill_count: 0
    .symbol:         fft_rtc_fwd_len1078_factors_2_11_7_7_wgs_231_tpt_77_halfLds_half_ip_CI_unitstride_sbrr_C2R_dirReg.kd
    .uniform_work_group_size: 1
    .uses_dynamic_stack: false
    .vgpr_count:     148
    .vgpr_spill_count: 0
    .wavefront_size: 32
    .workgroup_processor_mode: 1
amdhsa.target:   amdgcn-amd-amdhsa--gfx1201
amdhsa.version:
  - 1
  - 2
...

	.end_amdgpu_metadata
